;; amdgpu-corpus repo=ROCm/rocFFT kind=compiled arch=gfx950 opt=O3
	.text
	.amdgcn_target "amdgcn-amd-amdhsa--gfx950"
	.amdhsa_code_object_version 6
	.protected	bluestein_single_fwd_len4000_dim1_dp_op_CI_CI ; -- Begin function bluestein_single_fwd_len4000_dim1_dp_op_CI_CI
	.globl	bluestein_single_fwd_len4000_dim1_dp_op_CI_CI
	.p2align	8
	.type	bluestein_single_fwd_len4000_dim1_dp_op_CI_CI,@function
bluestein_single_fwd_len4000_dim1_dp_op_CI_CI: ; @bluestein_single_fwd_len4000_dim1_dp_op_CI_CI
; %bb.0:
	s_load_dwordx4 s[12:15], s[0:1], 0x28
	v_mul_u32_u24_e32 v1, 0x148, v0
	v_add_u32_sdwa v108, s2, v1 dst_sel:DWORD dst_unused:UNUSED_PAD src0_sel:DWORD src1_sel:WORD_1
	v_mov_b32_e32 v109, 0
	s_waitcnt lgkmcnt(0)
	v_cmp_gt_u64_e32 vcc, s[12:13], v[108:109]
	s_and_saveexec_b64 s[2:3], vcc
	s_cbranch_execz .LBB0_2
; %bb.1:
	s_load_dwordx4 s[4:7], s[0:1], 0x0
	s_load_dwordx4 s[8:11], s[0:1], 0x18
	s_load_dwordx2 s[2:3], s[0:1], 0x38
	v_mov_b32_e32 v2, s14
	v_mov_b32_e32 v3, s15
	;; [unrolled: 1-line block ×3, first 2 shown]
	s_movk_i32 s21, 0x3000
	s_waitcnt lgkmcnt(0)
	v_mov_b32_e32 v170, s2
	v_mov_b32_e32 v171, s3
	s_load_dwordx4 s[0:3], s[10:11], 0x0
	s_movk_i32 s22, 0x6000
	s_mov_b32 s20, 0xa000
	v_mov_b32_e32 v169, 0xffff2b80
	s_mov_b32 s24, 0x8000
	s_waitcnt lgkmcnt(0)
	v_mad_u64_u32 v[6:7], s[10:11], s2, v108, 0
	s_load_dwordx4 s[8:11], s[8:9], 0x0
	v_mov_b32_e32 v4, v7
	v_mad_u64_u32 v[4:5], s[2:3], s3, v108, v[4:5]
	v_mov_b32_e32 v7, v4
	v_accvgpr_write_b32 a0, v6
	s_waitcnt lgkmcnt(0)
	v_mad_u64_u32 v[4:5], s[2:3], s10, v108, 0
	v_accvgpr_write_b32 a1, v7
	v_mov_b32_e32 v6, v5
	v_mad_u64_u32 v[6:7], s[2:3], s11, v108, v[6:7]
	s_movk_i32 s2, 0xc8
	s_nop 0
	v_mul_lo_u16_sdwa v1, v1, s2 dst_sel:DWORD dst_unused:UNUSED_PAD src0_sel:WORD_1 src1_sel:DWORD
	v_sub_u16_e32 v148, v0, v1
	s_mov_b32 s2, 0
	v_mov_b32_e32 v149, s2
	v_mad_u64_u32 v[0:1], s[2:3], s8, v148, 0
	v_mov_b32_e32 v5, v6
	v_mov_b32_e32 v6, v1
	v_mad_u64_u32 v[6:7], s[2:3], s9, v148, v[6:7]
	v_mov_b32_e32 v1, v6
	v_lshl_add_u64 v[2:3], v[4:5], 4, v[2:3]
	v_lshl_add_u64 v[8:9], v[0:1], 4, v[2:3]
	v_lshlrev_b32_e32 v108, 4, v148
	global_load_dwordx4 v[0:3], v[8:9], off
	global_load_dwordx4 v[10:13], v108, s[4:5]
	v_mad_u64_u32 v[8:9], s[2:3], s8, v137, v[8:9]
	v_lshl_add_u64 v[80:81], s[4:5], 0, v[108:109]
	s_movk_i32 s3, 0x1000
	s_mul_i32 s2, s9, 0x1900
	v_add_u32_e32 v9, s2, v9
	s_mov_b32 s23, 0xd000
	s_mov_b32 s13, 0xbfe2cf23
	;; [unrolled: 1-line block ×7, first 2 shown]
	s_movk_i32 s25, 0xcd
	s_waitcnt vmcnt(0)
	v_accvgpr_write_b32 a2, v10
	v_mul_f64 v[4:5], v[2:3], v[12:13]
	v_fmac_f64_e32 v[4:5], v[0:1], v[10:11]
	v_mul_f64 v[0:1], v[0:1], v[12:13]
	v_fma_f64 v[6:7], v[2:3], v[10:11], -v[0:1]
	ds_write_b128 v108, v[4:7]
	v_add_co_u32_e32 v4, vcc, s3, v80
	v_accvgpr_write_b32 a3, v11
	s_nop 0
	v_addc_co_u32_e32 v5, vcc, 0, v81, vcc
	v_accvgpr_write_b32 a4, v12
	v_accvgpr_write_b32 a5, v13
	global_load_dwordx4 v[0:3], v[8:9], off
	global_load_dwordx4 v[10:13], v[4:5], off offset:2304
	v_mad_u64_u32 v[8:9], s[10:11], s8, v137, v[8:9]
	v_add_u32_e32 v9, s2, v9
	s_movk_i32 s3, 0x4000
	s_waitcnt vmcnt(0)
	v_mul_f64 v[4:5], v[2:3], v[12:13]
	v_fmac_f64_e32 v[4:5], v[0:1], v[10:11]
	v_mul_f64 v[0:1], v[0:1], v[12:13]
	v_accvgpr_write_b32 a6, v10
	v_fma_f64 v[6:7], v[2:3], v[10:11], -v[0:1]
	v_accvgpr_write_b32 a7, v11
	v_accvgpr_write_b32 a8, v12
	;; [unrolled: 1-line block ×3, first 2 shown]
	v_add_co_u32_e32 v10, vcc, s21, v80
	global_load_dwordx4 v[0:3], v[8:9], off
	s_nop 0
	v_addc_co_u32_e32 v11, vcc, 0, v81, vcc
	global_load_dwordx4 v[12:15], v[10:11], off offset:512
	ds_write_b128 v108, v[4:7] offset:6400
	v_mad_u64_u32 v[8:9], s[10:11], s8, v137, v[8:9]
	v_add_u32_e32 v9, s2, v9
	s_waitcnt vmcnt(0)
	v_mul_f64 v[4:5], v[2:3], v[14:15]
	v_fmac_f64_e32 v[4:5], v[0:1], v[12:13]
	v_mul_f64 v[0:1], v[0:1], v[14:15]
	v_fma_f64 v[6:7], v[2:3], v[12:13], -v[0:1]
	ds_write_b128 v108, v[4:7] offset:12800
	v_add_co_u32_e32 v4, vcc, s3, v80
	v_accvgpr_write_b32 a10, v12
	s_nop 0
	v_addc_co_u32_e32 v5, vcc, 0, v81, vcc
	v_accvgpr_write_b32 a11, v13
	v_accvgpr_write_b32 a12, v14
	v_accvgpr_write_b32 a13, v15
	global_load_dwordx4 v[0:3], v[8:9], off
	global_load_dwordx4 v[12:15], v[4:5], off offset:2816
	v_mad_u64_u32 v[8:9], s[10:11], s8, v137, v[8:9]
	v_add_u32_e32 v9, s2, v9
	s_movk_i32 s3, 0x7000
	s_waitcnt vmcnt(0)
	v_mul_f64 v[4:5], v[2:3], v[14:15]
	v_fmac_f64_e32 v[4:5], v[0:1], v[12:13]
	v_mul_f64 v[0:1], v[0:1], v[14:15]
	v_fma_f64 v[6:7], v[2:3], v[12:13], -v[0:1]
	ds_write_b128 v108, v[4:7] offset:19200
	v_add_co_u32_e32 v4, vcc, s22, v80
	v_accvgpr_write_b32 a21, v15
	s_nop 0
	v_addc_co_u32_e32 v5, vcc, 0, v81, vcc
	v_accvgpr_write_b32 a20, v14
	v_accvgpr_write_b32 a19, v13
	;; [unrolled: 1-line block ×3, first 2 shown]
	global_load_dwordx4 v[0:3], v[8:9], off
	global_load_dwordx4 v[12:15], v[4:5], off offset:1024
	s_waitcnt vmcnt(0)
	v_mul_f64 v[4:5], v[2:3], v[14:15]
	v_fmac_f64_e32 v[4:5], v[0:1], v[12:13]
	v_mul_f64 v[0:1], v[0:1], v[14:15]
	v_accvgpr_write_b32 a25, v15
	v_fma_f64 v[6:7], v[2:3], v[12:13], -v[0:1]
	v_accvgpr_write_b32 a24, v14
	v_accvgpr_write_b32 a23, v13
	;; [unrolled: 1-line block ×3, first 2 shown]
	v_mad_u64_u32 v[12:13], s[10:11], s8, v137, v[8:9]
	v_add_co_u32_e32 v8, vcc, s3, v80
	v_add_u32_e32 v13, s2, v13
	s_nop 0
	v_addc_co_u32_e32 v9, vcc, 0, v81, vcc
	global_load_dwordx4 v[0:3], v[12:13], off
	global_load_dwordx4 v[14:17], v[8:9], off offset:3328
	ds_write_b128 v108, v[4:7] offset:25600
	s_mov_b32 s3, 0x9000
	v_mad_u64_u32 v[12:13], s[10:11], s8, v137, v[12:13]
	v_add_u32_e32 v13, s2, v13
	s_waitcnt vmcnt(0)
	v_mul_f64 v[4:5], v[2:3], v[16:17]
	v_fmac_f64_e32 v[4:5], v[0:1], v[14:15]
	v_mul_f64 v[0:1], v[0:1], v[16:17]
	v_fma_f64 v[6:7], v[2:3], v[14:15], -v[0:1]
	ds_write_b128 v108, v[4:7] offset:32000
	v_add_co_u32_e32 v4, vcc, s3, v80
	v_accvgpr_write_b32 a29, v17
	s_nop 0
	v_addc_co_u32_e32 v5, vcc, 0, v81, vcc
	v_accvgpr_write_b32 a28, v16
	v_accvgpr_write_b32 a27, v15
	;; [unrolled: 1-line block ×3, first 2 shown]
	global_load_dwordx4 v[0:3], v[12:13], off
	global_load_dwordx4 v[14:17], v[4:5], off offset:1536
	s_mov_b32 s3, 0xc000
	s_waitcnt vmcnt(0)
	v_mul_f64 v[4:5], v[2:3], v[16:17]
	v_fmac_f64_e32 v[4:5], v[0:1], v[14:15]
	v_mul_f64 v[0:1], v[0:1], v[16:17]
	v_fma_f64 v[6:7], v[2:3], v[14:15], -v[0:1]
	ds_write_b128 v108, v[4:7] offset:38400
	v_mad_u64_u32 v[4:5], s[10:11], s8, v137, v[12:13]
	v_add_co_u32_e32 v6, vcc, s20, v80
	v_accvgpr_write_b32 a33, v17
	v_add_u32_e32 v5, s2, v5
	v_addc_co_u32_e32 v7, vcc, 0, v81, vcc
	v_accvgpr_write_b32 a32, v16
	v_accvgpr_write_b32 a31, v15
	v_accvgpr_write_b32 a30, v14
	global_load_dwordx4 v[0:3], v[4:5], off
	global_load_dwordx4 v[16:19], v[6:7], off offset:3840
	v_mad_u64_u32 v[4:5], s[10:11], s8, v137, v[4:5]
	v_add_u32_e32 v5, s2, v5
	s_waitcnt vmcnt(0)
	v_mul_f64 v[12:13], v[2:3], v[18:19]
	v_fmac_f64_e32 v[12:13], v[0:1], v[16:17]
	v_mul_f64 v[0:1], v[0:1], v[18:19]
	v_fma_f64 v[14:15], v[2:3], v[16:17], -v[0:1]
	ds_write_b128 v108, v[12:15] offset:44800
	v_add_co_u32_e32 v12, vcc, s3, v80
	v_accvgpr_write_b32 a37, v19
	s_nop 0
	v_addc_co_u32_e32 v13, vcc, 0, v81, vcc
	v_accvgpr_write_b32 a36, v18
	v_accvgpr_write_b32 a35, v17
	;; [unrolled: 1-line block ×3, first 2 shown]
	global_load_dwordx4 v[0:3], v[4:5], off
	global_load_dwordx4 v[16:19], v[12:13], off offset:2048
	s_mov_b32 s3, 0xe000
	s_waitcnt vmcnt(0)
	v_mul_f64 v[12:13], v[2:3], v[18:19]
	v_fmac_f64_e32 v[12:13], v[0:1], v[16:17]
	v_mul_f64 v[0:1], v[0:1], v[18:19]
	v_accvgpr_write_b32 a41, v19
	v_fma_f64 v[14:15], v[2:3], v[16:17], -v[0:1]
	v_accvgpr_write_b32 a40, v18
	v_accvgpr_write_b32 a39, v17
	;; [unrolled: 1-line block ×3, first 2 shown]
	v_mad_u64_u32 v[16:17], s[10:11], s8, v137, v[4:5]
	v_add_co_u32_e32 v4, vcc, s3, v80
	v_add_u32_e32 v17, s2, v17
	s_nop 0
	v_addc_co_u32_e32 v5, vcc, 0, v81, vcc
	global_load_dwordx4 v[0:3], v[16:17], off
	global_load_dwordx4 v[18:21], v[4:5], off offset:256
	ds_write_b128 v108, v[12:15] offset:51200
	s_mov_b64 s[10:11], 0xc8
	s_mul_i32 s3, s9, 0xffff2b80
	v_lshl_add_u64 v[82:83], v[148:149], 0, s[10:11]
	s_sub_i32 s3, s3, s8
	v_mul_lo_u16_e32 v83, 10, v148
	v_lshlrev_b32_e32 v149, 4, v83
	v_mul_lo_u16_sdwa v83, v148, s25 dst_sel:DWORD dst_unused:UNUSED_PAD src0_sel:BYTE_0 src1_sel:DWORD
	v_lshrrev_b16_e32 v83, 11, v83
	s_movk_i32 s25, 0x90
	s_waitcnt vmcnt(0)
	v_mul_f64 v[12:13], v[2:3], v[20:21]
	v_fmac_f64_e32 v[12:13], v[0:1], v[18:19]
	v_mul_f64 v[0:1], v[0:1], v[20:21]
	v_fma_f64 v[14:15], v[2:3], v[18:19], -v[0:1]
	ds_write_b128 v108, v[12:15] offset:57600
	v_mad_u64_u32 v[12:13], s[10:11], s8, v169, v[16:17]
	v_accvgpr_write_b32 a45, v21
	v_add_u32_e32 v13, s3, v13
	v_accvgpr_write_b32 a44, v20
	v_accvgpr_write_b32 a43, v19
	;; [unrolled: 1-line block ×3, first 2 shown]
	global_load_dwordx4 v[0:3], v[12:13], off
	global_load_dwordx4 v[18:21], v108, s[4:5] offset:3200
	s_movk_i32 s3, 0x2000
	s_mov_b32 s11, 0xbfee6f0e
	s_waitcnt vmcnt(0)
	v_mul_f64 v[14:15], v[2:3], v[20:21]
	v_fmac_f64_e32 v[14:15], v[0:1], v[18:19]
	v_mul_f64 v[0:1], v[0:1], v[20:21]
	v_fma_f64 v[16:17], v[2:3], v[18:19], -v[0:1]
	ds_write_b128 v108, v[14:17] offset:3200
	v_mad_u64_u32 v[16:17], s[4:5], s8, v137, v[12:13]
	v_add_co_u32_e32 v12, vcc, s3, v80
	v_accvgpr_write_b32 a49, v21
	v_add_u32_e32 v17, s2, v17
	v_addc_co_u32_e32 v13, vcc, 0, v81, vcc
	v_accvgpr_write_b32 a48, v20
	v_accvgpr_write_b32 a47, v19
	;; [unrolled: 1-line block ×3, first 2 shown]
	global_load_dwordx4 v[0:3], v[16:17], off
	global_load_dwordx4 v[18:21], v[12:13], off offset:1408
	s_movk_i32 s3, 0x5000
	s_waitcnt vmcnt(0)
	v_mul_f64 v[12:13], v[2:3], v[20:21]
	v_fmac_f64_e32 v[12:13], v[0:1], v[18:19]
	v_mul_f64 v[0:1], v[0:1], v[20:21]
	v_fma_f64 v[14:15], v[2:3], v[18:19], -v[0:1]
	v_mad_u64_u32 v[0:1], s[4:5], s8, v137, v[16:17]
	v_accvgpr_write_b32 a53, v21
	ds_write_b128 v108, v[12:15] offset:9600
	v_add_u32_e32 v1, s2, v1
	v_accvgpr_write_b32 a52, v20
	v_accvgpr_write_b32 a51, v19
	v_accvgpr_write_b32 a50, v18
	global_load_dwordx4 v[12:15], v[0:1], off
	global_load_dwordx4 v[16:19], v[10:11], off offset:3712
	s_waitcnt vmcnt(0)
	v_mul_f64 v[10:11], v[14:15], v[18:19]
	v_mul_f64 v[2:3], v[12:13], v[18:19]
	v_fmac_f64_e32 v[10:11], v[12:13], v[16:17]
	v_fma_f64 v[12:13], v[14:15], v[16:17], -v[2:3]
	ds_write_b128 v108, v[10:13] offset:16000
	v_mad_u64_u32 v[14:15], s[4:5], s8, v137, v[0:1]
	v_add_co_u32_e32 v10, vcc, s3, v80
	v_accvgpr_write_b32 a57, v19
	v_add_u32_e32 v15, s2, v15
	v_addc_co_u32_e32 v11, vcc, 0, v81, vcc
	v_accvgpr_write_b32 a56, v18
	v_accvgpr_write_b32 a55, v17
	;; [unrolled: 1-line block ×3, first 2 shown]
	global_load_dwordx4 v[0:3], v[14:15], off
	global_load_dwordx4 v[16:19], v[10:11], off offset:1920
	s_mov_b32 s3, 0xb000
	s_waitcnt vmcnt(0)
	v_mul_f64 v[10:11], v[2:3], v[18:19]
	v_fmac_f64_e32 v[10:11], v[0:1], v[16:17]
	v_mul_f64 v[0:1], v[0:1], v[18:19]
	v_fma_f64 v[12:13], v[2:3], v[16:17], -v[0:1]
	ds_write_b128 v108, v[10:13] offset:22400
	v_mad_u64_u32 v[12:13], s[4:5], s8, v137, v[14:15]
	v_accvgpr_write_b32 a61, v19
	v_add_u32_e32 v13, s2, v13
	v_accvgpr_write_b32 a60, v18
	v_accvgpr_write_b32 a59, v17
	;; [unrolled: 1-line block ×3, first 2 shown]
	global_load_dwordx4 v[0:3], v[12:13], off
	global_load_dwordx4 v[14:17], v[8:9], off offset:128
	v_mad_u64_u32 v[12:13], s[4:5], s8, v137, v[12:13]
	v_add_u32_e32 v13, s2, v13
	s_waitcnt vmcnt(0)
	v_mul_f64 v[8:9], v[2:3], v[16:17]
	v_fmac_f64_e32 v[8:9], v[0:1], v[14:15]
	v_mul_f64 v[0:1], v[0:1], v[16:17]
	v_fma_f64 v[10:11], v[2:3], v[14:15], -v[0:1]
	ds_write_b128 v108, v[8:11] offset:28800
	v_add_co_u32_e32 v8, vcc, s24, v80
	v_accvgpr_write_b32 a65, v17
	s_nop 0
	v_addc_co_u32_e32 v9, vcc, 0, v81, vcc
	v_accvgpr_write_b32 a64, v16
	v_accvgpr_write_b32 a63, v15
	;; [unrolled: 1-line block ×3, first 2 shown]
	global_load_dwordx4 v[0:3], v[12:13], off
	global_load_dwordx4 v[14:17], v[8:9], off offset:2432
	s_waitcnt vmcnt(0)
	v_mul_f64 v[8:9], v[2:3], v[16:17]
	v_fmac_f64_e32 v[8:9], v[0:1], v[14:15]
	v_mul_f64 v[0:1], v[0:1], v[16:17]
	v_fma_f64 v[10:11], v[2:3], v[14:15], -v[0:1]
	ds_write_b128 v108, v[8:11] offset:35200
	v_mad_u64_u32 v[10:11], s[4:5], s8, v137, v[12:13]
	v_accvgpr_write_b32 a69, v17
	v_add_u32_e32 v11, s2, v11
	v_accvgpr_write_b32 a68, v16
	v_accvgpr_write_b32 a67, v15
	v_accvgpr_write_b32 a66, v14
	global_load_dwordx4 v[0:3], v[10:11], off
	global_load_dwordx4 v[12:15], v[6:7], off offset:640
	v_mad_u64_u32 v[10:11], s[4:5], s8, v137, v[10:11]
	v_add_u32_e32 v11, s2, v11
	s_waitcnt vmcnt(0)
	v_mul_f64 v[6:7], v[2:3], v[14:15]
	v_fmac_f64_e32 v[6:7], v[0:1], v[12:13]
	v_mul_f64 v[0:1], v[0:1], v[14:15]
	v_fma_f64 v[8:9], v[2:3], v[12:13], -v[0:1]
	ds_write_b128 v108, v[6:9] offset:41600
	v_add_co_u32_e32 v6, vcc, s3, v80
	v_accvgpr_write_b32 a73, v15
	s_nop 0
	v_addc_co_u32_e32 v7, vcc, 0, v81, vcc
	v_accvgpr_write_b32 a72, v14
	v_accvgpr_write_b32 a71, v13
	;; [unrolled: 1-line block ×3, first 2 shown]
	global_load_dwordx4 v[0:3], v[10:11], off
	global_load_dwordx4 v[12:15], v[6:7], off offset:2944
	v_mad_u64_u32 v[10:11], s[4:5], s8, v137, v[10:11]
	v_add_u32_e32 v11, s2, v11
	s_waitcnt vmcnt(0)
	v_mul_f64 v[6:7], v[2:3], v[14:15]
	v_fmac_f64_e32 v[6:7], v[0:1], v[12:13]
	v_mul_f64 v[0:1], v[0:1], v[14:15]
	v_fma_f64 v[8:9], v[2:3], v[12:13], -v[0:1]
	ds_write_b128 v108, v[6:9] offset:48000
	v_add_co_u32_e32 v6, vcc, s23, v80
	v_accvgpr_write_b32 a77, v15
	s_nop 0
	v_addc_co_u32_e32 v7, vcc, 0, v81, vcc
	v_accvgpr_write_b32 a76, v14
	v_accvgpr_write_b32 a75, v13
	;; [unrolled: 1-line block ×3, first 2 shown]
	global_load_dwordx4 v[0:3], v[10:11], off
	global_load_dwordx4 v[12:15], v[6:7], off offset:1152
	s_waitcnt vmcnt(0)
	v_mul_f64 v[6:7], v[2:3], v[14:15]
	v_fmac_f64_e32 v[6:7], v[0:1], v[12:13]
	v_mul_f64 v[0:1], v[0:1], v[14:15]
	v_fma_f64 v[8:9], v[2:3], v[12:13], -v[0:1]
	ds_write_b128 v108, v[6:9] offset:54400
	v_mad_u64_u32 v[6:7], s[4:5], s8, v137, v[10:11]
	v_add_u32_e32 v7, s2, v7
	global_load_dwordx4 v[0:3], v[6:7], off
	global_load_dwordx4 v[8:11], v[4:5], off offset:3456
	v_accvgpr_write_b32 a81, v15
	v_accvgpr_write_b32 a80, v14
	;; [unrolled: 1-line block ×4, first 2 shown]
	s_mov_b32 s4, 0x134454ff
	s_mov_b32 s5, 0x3fee6f0e
	;; [unrolled: 1-line block ×9, first 2 shown]
	s_waitcnt vmcnt(0)
	v_mul_f64 v[4:5], v[2:3], v[10:11]
	v_fmac_f64_e32 v[4:5], v[0:1], v[8:9]
	v_mul_f64 v[0:1], v[0:1], v[10:11]
	v_fma_f64 v[6:7], v[2:3], v[8:9], -v[0:1]
	v_accvgpr_write_b32 a17, v11
	v_accvgpr_write_b32 a16, v10
	;; [unrolled: 1-line block ×4, first 2 shown]
	ds_write_b128 v108, v[4:7] offset:60800
	s_waitcnt lgkmcnt(0)
	s_barrier
	ds_read_b128 v[12:15], v108
	ds_read_b128 v[24:27], v108 offset:6400
	ds_read_b128 v[64:67], v108 offset:12800
	;; [unrolled: 1-line block ×19, first 2 shown]
	s_waitcnt lgkmcnt(13)
	v_add_f64 v[86:87], v[68:69], v[72:73]
	v_fma_f64 v[86:87], -0.5, v[86:87], v[12:13]
	s_waitcnt lgkmcnt(11)
	v_add_f64 v[88:89], v[66:67], -v[78:79]
	v_fma_f64 v[90:91], s[4:5], v[88:89], v[86:87]
	v_add_f64 v[92:93], v[70:71], -v[74:75]
	v_add_f64 v[94:95], v[64:65], -v[68:69]
	;; [unrolled: 1-line block ×3, first 2 shown]
	v_fmac_f64_e32 v[86:87], s[10:11], v[88:89]
	v_fmac_f64_e32 v[90:91], s[2:3], v[92:93]
	v_add_f64 v[94:95], v[94:95], v[96:97]
	v_fmac_f64_e32 v[86:87], s[12:13], v[92:93]
	v_fmac_f64_e32 v[90:91], s[8:9], v[94:95]
	v_fmac_f64_e32 v[86:87], s[8:9], v[94:95]
	v_add_f64 v[94:95], v[64:65], v[76:77]
	v_add_f64 v[84:85], v[12:13], v[64:65]
	v_fmac_f64_e32 v[12:13], -0.5, v[94:95]
	v_add_f64 v[84:85], v[84:85], v[68:69]
	v_fma_f64 v[94:95], s[10:11], v[92:93], v[12:13]
	v_add_f64 v[96:97], v[68:69], -v[64:65]
	v_add_f64 v[98:99], v[72:73], -v[76:77]
	v_fmac_f64_e32 v[12:13], s[4:5], v[92:93]
	v_add_f64 v[92:93], v[70:71], v[74:75]
	v_add_f64 v[84:85], v[84:85], v[72:73]
	v_fmac_f64_e32 v[94:95], s[2:3], v[88:89]
	v_add_f64 v[96:97], v[96:97], v[98:99]
	v_fmac_f64_e32 v[12:13], s[12:13], v[88:89]
	v_fma_f64 v[92:93], -0.5, v[92:93], v[14:15]
	v_add_f64 v[64:65], v[64:65], -v[76:77]
	v_add_f64 v[84:85], v[84:85], v[76:77]
	v_fmac_f64_e32 v[94:95], s[8:9], v[96:97]
	v_fmac_f64_e32 v[12:13], s[8:9], v[96:97]
	v_fma_f64 v[96:97], s[10:11], v[64:65], v[92:93]
	v_add_f64 v[68:69], v[68:69], -v[72:73]
	v_add_f64 v[72:73], v[66:67], -v[70:71]
	;; [unrolled: 1-line block ×3, first 2 shown]
	v_fmac_f64_e32 v[92:93], s[4:5], v[64:65]
	v_fmac_f64_e32 v[96:97], s[12:13], v[68:69]
	v_add_f64 v[72:73], v[72:73], v[76:77]
	v_fmac_f64_e32 v[92:93], s[2:3], v[68:69]
	v_fmac_f64_e32 v[96:97], s[8:9], v[72:73]
	;; [unrolled: 1-line block ×3, first 2 shown]
	v_add_f64 v[72:73], v[66:67], v[78:79]
	v_add_f64 v[88:89], v[14:15], v[66:67]
	v_fmac_f64_e32 v[14:15], -0.5, v[72:73]
	v_fma_f64 v[98:99], s[4:5], v[68:69], v[14:15]
	v_fmac_f64_e32 v[14:15], s[10:11], v[68:69]
	v_fmac_f64_e32 v[98:99], s[12:13], v[64:65]
	;; [unrolled: 1-line block ×3, first 2 shown]
	v_add_f64 v[64:65], v[24:25], v[44:45]
	v_add_f64 v[64:65], v[64:65], v[48:49]
	;; [unrolled: 1-line block ×3, first 2 shown]
	v_add_f64 v[66:67], v[70:71], -v[66:67]
	v_add_f64 v[70:71], v[74:75], -v[78:79]
	v_add_f64 v[64:65], v[64:65], v[52:53]
	v_add_f64 v[66:67], v[66:67], v[70:71]
	s_waitcnt lgkmcnt(10)
	v_add_f64 v[68:69], v[64:65], v[56:57]
	v_add_f64 v[64:65], v[48:49], v[52:53]
	v_fmac_f64_e32 v[98:99], s[8:9], v[66:67]
	v_fmac_f64_e32 v[14:15], s[8:9], v[66:67]
	v_fma_f64 v[66:67], -0.5, v[64:65], v[24:25]
	v_add_f64 v[64:65], v[46:47], -v[58:59]
	v_add_f64 v[88:89], v[88:89], v[74:75]
	v_fma_f64 v[70:71], s[4:5], v[64:65], v[66:67]
	v_add_f64 v[72:73], v[50:51], -v[54:55]
	v_add_f64 v[74:75], v[44:45], -v[48:49]
	;; [unrolled: 1-line block ×3, first 2 shown]
	v_fmac_f64_e32 v[66:67], s[10:11], v[64:65]
	v_fmac_f64_e32 v[70:71], s[2:3], v[72:73]
	v_add_f64 v[74:75], v[74:75], v[76:77]
	v_fmac_f64_e32 v[66:67], s[12:13], v[72:73]
	v_fmac_f64_e32 v[70:71], s[8:9], v[74:75]
	;; [unrolled: 1-line block ×3, first 2 shown]
	v_add_f64 v[74:75], v[44:45], v[56:57]
	v_fmac_f64_e32 v[24:25], -0.5, v[74:75]
	v_fma_f64 v[74:75], s[10:11], v[72:73], v[24:25]
	v_fmac_f64_e32 v[24:25], s[4:5], v[72:73]
	v_fmac_f64_e32 v[74:75], s[2:3], v[64:65]
	;; [unrolled: 1-line block ×3, first 2 shown]
	v_add_f64 v[64:65], v[26:27], v[46:47]
	v_add_f64 v[64:65], v[64:65], v[50:51]
	;; [unrolled: 1-line block ×3, first 2 shown]
	v_add_f64 v[76:77], v[48:49], -v[44:45]
	v_add_f64 v[78:79], v[52:53], -v[56:57]
	v_add_f64 v[64:65], v[64:65], v[54:55]
	v_add_f64 v[76:77], v[76:77], v[78:79]
	;; [unrolled: 1-line block ×4, first 2 shown]
	v_fma_f64 v[72:73], -0.5, v[64:65], v[26:27]
	v_add_f64 v[44:45], v[44:45], -v[56:57]
	v_fmac_f64_e32 v[74:75], s[8:9], v[76:77]
	v_fmac_f64_e32 v[24:25], s[8:9], v[76:77]
	v_fma_f64 v[76:77], s[10:11], v[44:45], v[72:73]
	v_add_f64 v[48:49], v[48:49], -v[52:53]
	v_add_f64 v[52:53], v[46:47], -v[50:51]
	;; [unrolled: 1-line block ×3, first 2 shown]
	v_fmac_f64_e32 v[72:73], s[4:5], v[44:45]
	v_fmac_f64_e32 v[76:77], s[12:13], v[48:49]
	v_add_f64 v[52:53], v[52:53], v[56:57]
	v_fmac_f64_e32 v[72:73], s[2:3], v[48:49]
	v_fmac_f64_e32 v[76:77], s[8:9], v[52:53]
	;; [unrolled: 1-line block ×3, first 2 shown]
	v_add_f64 v[52:53], v[46:47], v[58:59]
	v_fmac_f64_e32 v[26:27], -0.5, v[52:53]
	v_fma_f64 v[100:101], s[4:5], v[48:49], v[26:27]
	v_add_f64 v[46:47], v[50:51], -v[46:47]
	v_add_f64 v[50:51], v[54:55], -v[58:59]
	v_fmac_f64_e32 v[26:27], s[10:11], v[48:49]
	v_add_f64 v[46:47], v[46:47], v[50:51]
	v_fmac_f64_e32 v[26:27], s[2:3], v[44:45]
	v_fmac_f64_e32 v[100:101], s[12:13], v[44:45]
	;; [unrolled: 1-line block ×3, first 2 shown]
	v_mul_f64 v[110:111], v[24:25], s[14:15]
	v_mul_f64 v[112:113], v[66:67], s[16:17]
	v_fmac_f64_e32 v[100:101], s[8:9], v[46:47]
	v_fmac_f64_e32 v[110:111], s[4:5], v[26:27]
	v_fmac_f64_e32 v[112:113], s[2:3], v[72:73]
	v_mul_f64 v[114:115], v[74:75], s[10:11]
	v_mul_f64 v[26:27], v[26:27], s[14:15]
	;; [unrolled: 1-line block ×4, first 2 shown]
	v_add_f64 v[56:57], v[12:13], v[110:111]
	v_add_f64 v[64:65], v[86:87], v[112:113]
	v_mul_f64 v[70:71], v[70:71], s[12:13]
	v_fmac_f64_e32 v[114:115], s[8:9], v[100:101]
	v_fmac_f64_e32 v[26:27], s[10:11], v[24:25]
	v_mul_f64 v[100:101], v[72:73], s[16:17]
	v_add_f64 v[24:25], v[12:13], -v[110:111]
	v_add_f64 v[12:13], v[86:87], -v[112:113]
	s_waitcnt lgkmcnt(3)
	v_add_f64 v[86:87], v[36:37], v[40:41]
	v_fmac_f64_e32 v[102:103], s[2:3], v[76:77]
	v_fmac_f64_e32 v[104:105], s[8:9], v[74:75]
	v_add_f64 v[46:47], v[88:89], v[78:79]
	v_fmac_f64_e32 v[70:71], s[18:19], v[76:77]
	v_fmac_f64_e32 v[100:101], s[12:13], v[66:67]
	v_add_f64 v[78:79], v[88:89], -v[78:79]
	v_fma_f64 v[86:87], -0.5, v[86:87], v[0:1]
	s_waitcnt lgkmcnt(1)
	v_add_f64 v[88:89], v[34:35], -v[62:63]
	v_add_f64 v[44:45], v[84:85], v[68:69]
	v_add_f64 v[48:49], v[90:91], v[102:103]
	;; [unrolled: 1-line block ×6, first 2 shown]
	v_add_f64 v[76:77], v[84:85], -v[68:69]
	v_add_f64 v[72:73], v[90:91], -v[102:103]
	;; [unrolled: 1-line block ×6, first 2 shown]
	v_fma_f64 v[90:91], s[4:5], v[88:89], v[86:87]
	v_add_f64 v[92:93], v[38:39], -v[42:43]
	v_add_f64 v[94:95], v[32:33], -v[36:37]
	;; [unrolled: 1-line block ×3, first 2 shown]
	v_fmac_f64_e32 v[86:87], s[10:11], v[88:89]
	v_fmac_f64_e32 v[90:91], s[2:3], v[92:93]
	v_add_f64 v[94:95], v[94:95], v[96:97]
	v_fmac_f64_e32 v[86:87], s[12:13], v[92:93]
	v_fmac_f64_e32 v[90:91], s[8:9], v[94:95]
	;; [unrolled: 1-line block ×3, first 2 shown]
	v_add_f64 v[94:95], v[32:33], v[60:61]
	v_add_f64 v[84:85], v[0:1], v[32:33]
	v_fmac_f64_e32 v[0:1], -0.5, v[94:95]
	v_add_f64 v[54:55], v[98:99], v[114:115]
	v_add_f64 v[70:71], v[98:99], -v[114:115]
	v_add_f64 v[84:85], v[84:85], v[36:37]
	v_fma_f64 v[94:95], s[10:11], v[92:93], v[0:1]
	v_add_f64 v[96:97], v[36:37], -v[32:33]
	v_add_f64 v[98:99], v[40:41], -v[60:61]
	v_fmac_f64_e32 v[0:1], s[4:5], v[92:93]
	v_add_f64 v[92:93], v[38:39], v[42:43]
	v_add_f64 v[84:85], v[84:85], v[40:41]
	v_fmac_f64_e32 v[94:95], s[2:3], v[88:89]
	v_add_f64 v[96:97], v[96:97], v[98:99]
	v_fmac_f64_e32 v[0:1], s[12:13], v[88:89]
	v_fma_f64 v[92:93], -0.5, v[92:93], v[2:3]
	v_add_f64 v[32:33], v[32:33], -v[60:61]
	v_add_f64 v[84:85], v[84:85], v[60:61]
	v_fmac_f64_e32 v[94:95], s[8:9], v[96:97]
	v_fmac_f64_e32 v[0:1], s[8:9], v[96:97]
	v_fma_f64 v[96:97], s[10:11], v[32:33], v[92:93]
	v_add_f64 v[36:37], v[36:37], -v[40:41]
	v_add_f64 v[40:41], v[34:35], -v[38:39]
	;; [unrolled: 1-line block ×3, first 2 shown]
	v_fmac_f64_e32 v[92:93], s[4:5], v[32:33]
	v_fmac_f64_e32 v[96:97], s[12:13], v[36:37]
	v_add_f64 v[40:41], v[40:41], v[60:61]
	v_fmac_f64_e32 v[92:93], s[2:3], v[36:37]
	v_fmac_f64_e32 v[96:97], s[8:9], v[40:41]
	v_fmac_f64_e32 v[92:93], s[8:9], v[40:41]
	v_add_f64 v[40:41], v[34:35], v[62:63]
	v_add_f64 v[88:89], v[2:3], v[34:35]
	v_fmac_f64_e32 v[2:3], -0.5, v[40:41]
	v_fma_f64 v[98:99], s[4:5], v[36:37], v[2:3]
	v_fmac_f64_e32 v[2:3], s[10:11], v[36:37]
	v_fmac_f64_e32 v[98:99], s[12:13], v[32:33]
	;; [unrolled: 1-line block ×3, first 2 shown]
	v_add_f64 v[32:33], v[4:5], v[8:9]
	v_add_f64 v[32:33], v[32:33], v[16:17]
	;; [unrolled: 1-line block ×3, first 2 shown]
	v_add_f64 v[34:35], v[38:39], -v[34:35]
	v_add_f64 v[38:39], v[42:43], -v[62:63]
	v_add_f64 v[32:33], v[32:33], v[20:21]
	v_add_f64 v[34:35], v[34:35], v[38:39]
	s_waitcnt lgkmcnt(0)
	v_add_f64 v[36:37], v[32:33], v[28:29]
	v_add_f64 v[32:33], v[16:17], v[20:21]
	v_fmac_f64_e32 v[98:99], s[8:9], v[34:35]
	v_fmac_f64_e32 v[2:3], s[8:9], v[34:35]
	v_fma_f64 v[34:35], -0.5, v[32:33], v[4:5]
	v_add_f64 v[32:33], v[10:11], -v[30:31]
	v_add_f64 v[88:89], v[88:89], v[42:43]
	v_fma_f64 v[38:39], s[4:5], v[32:33], v[34:35]
	v_add_f64 v[40:41], v[18:19], -v[22:23]
	v_add_f64 v[42:43], v[8:9], -v[16:17]
	;; [unrolled: 1-line block ×3, first 2 shown]
	v_fmac_f64_e32 v[34:35], s[10:11], v[32:33]
	v_fmac_f64_e32 v[38:39], s[2:3], v[40:41]
	v_add_f64 v[42:43], v[42:43], v[60:61]
	v_fmac_f64_e32 v[34:35], s[12:13], v[40:41]
	v_fmac_f64_e32 v[38:39], s[8:9], v[42:43]
	;; [unrolled: 1-line block ×3, first 2 shown]
	v_add_f64 v[42:43], v[8:9], v[28:29]
	v_fmac_f64_e32 v[4:5], -0.5, v[42:43]
	v_fma_f64 v[42:43], s[10:11], v[40:41], v[4:5]
	v_fmac_f64_e32 v[4:5], s[4:5], v[40:41]
	v_fmac_f64_e32 v[42:43], s[2:3], v[32:33]
	;; [unrolled: 1-line block ×3, first 2 shown]
	v_add_f64 v[32:33], v[6:7], v[10:11]
	v_add_f64 v[32:33], v[32:33], v[18:19]
	;; [unrolled: 1-line block ×3, first 2 shown]
	v_add_f64 v[60:61], v[16:17], -v[8:9]
	v_add_f64 v[62:63], v[20:21], -v[28:29]
	v_add_f64 v[32:33], v[32:33], v[22:23]
	v_add_f64 v[60:61], v[60:61], v[62:63]
	;; [unrolled: 1-line block ×4, first 2 shown]
	v_fma_f64 v[40:41], -0.5, v[32:33], v[6:7]
	v_add_f64 v[8:9], v[8:9], -v[28:29]
	v_fmac_f64_e32 v[42:43], s[8:9], v[60:61]
	v_fmac_f64_e32 v[4:5], s[8:9], v[60:61]
	v_fma_f64 v[60:61], s[10:11], v[8:9], v[40:41]
	v_add_f64 v[16:17], v[16:17], -v[20:21]
	v_add_f64 v[20:21], v[10:11], -v[18:19]
	;; [unrolled: 1-line block ×3, first 2 shown]
	v_fmac_f64_e32 v[40:41], s[4:5], v[8:9]
	v_fmac_f64_e32 v[60:61], s[12:13], v[16:17]
	v_add_f64 v[20:21], v[20:21], v[28:29]
	v_fmac_f64_e32 v[40:41], s[2:3], v[16:17]
	v_fmac_f64_e32 v[60:61], s[8:9], v[20:21]
	;; [unrolled: 1-line block ×3, first 2 shown]
	v_add_f64 v[20:21], v[10:11], v[30:31]
	v_fmac_f64_e32 v[6:7], -0.5, v[20:21]
	v_fma_f64 v[100:101], s[4:5], v[16:17], v[6:7]
	v_add_f64 v[10:11], v[18:19], -v[10:11]
	v_add_f64 v[18:19], v[22:23], -v[30:31]
	v_fmac_f64_e32 v[100:101], s[12:13], v[8:9]
	v_add_f64 v[10:11], v[10:11], v[18:19]
	v_fmac_f64_e32 v[100:101], s[8:9], v[10:11]
	v_fmac_f64_e32 v[6:7], s[10:11], v[16:17]
	;; [unrolled: 1-line block ×3, first 2 shown]
	v_mul_f64 v[104:105], v[100:101], s[4:5]
	v_fmac_f64_e32 v[6:7], s[8:9], v[10:11]
	v_fmac_f64_e32 v[104:105], s[8:9], v[42:43]
	v_mul_f64 v[42:43], v[42:43], s[10:11]
	v_fmac_f64_e32 v[42:43], s[8:9], v[100:101]
	v_mul_f64 v[100:101], v[6:7], s[14:15]
	v_add_f64 v[8:9], v[84:85], v[36:37]
	v_mul_f64 v[110:111], v[4:5], s[14:15]
	v_fmac_f64_e32 v[100:101], s[10:11], v[4:5]
	v_add_f64 v[4:5], v[84:85], -v[36:37]
	v_mul_lo_u16_e32 v84, 10, v83
	v_mul_f64 v[102:103], v[38:39], s[18:19]
	v_mul_f64 v[112:113], v[34:35], s[16:17]
	;; [unrolled: 1-line block ×4, first 2 shown]
	v_sub_u16_e32 v84, v148, v84
	v_fmac_f64_e32 v[102:103], s[2:3], v[60:61]
	v_fmac_f64_e32 v[110:111], s[4:5], v[6:7]
	;; [unrolled: 1-line block ×5, first 2 shown]
	s_barrier
	ds_write_b128 v149, v[44:47]
	ds_write_b128 v149, v[48:51] offset:16
	ds_write_b128 v149, v[52:55] offset:32
	;; [unrolled: 1-line block ×9, first 2 shown]
	v_mul_u32_u24_e32 v12, 10, v82
	v_and_b32_e32 v107, 0xff, v84
	v_mov_b64_e32 v[84:85], s[6:7]
	v_add_f64 v[16:17], v[90:91], v[102:103]
	v_add_f64 v[20:21], v[94:95], v[104:105]
	;; [unrolled: 1-line block ×9, first 2 shown]
	v_add_f64 v[36:37], v[90:91], -v[102:103]
	v_add_f64 v[40:41], v[94:95], -v[104:105]
	;; [unrolled: 1-line block ×9, first 2 shown]
	v_lshlrev_b32_e32 v168, 4, v12
	v_mad_u64_u32 v[96:97], s[26:27], v107, s25, v[84:85]
	ds_write_b128 v168, v[8:11]
	ds_write_b128 v168, v[16:19] offset:16
	ds_write_b128 v168, v[20:23] offset:32
	;; [unrolled: 1-line block ×9, first 2 shown]
	s_waitcnt lgkmcnt(0)
	s_barrier
	ds_read_b128 v[4:7], v108
	ds_read_b128 v[76:79], v108 offset:6400
	ds_read_b128 v[72:75], v108 offset:12800
	;; [unrolled: 1-line block ×19, first 2 shown]
	global_load_dwordx4 v[86:89], v[96:97], off offset:48
	global_load_dwordx4 v[100:103], v[96:97], off offset:32
	;; [unrolled: 1-line block ×3, first 2 shown]
	global_load_dwordx4 v[110:113], v[96:97], off
	s_mov_b32 s25, 0xcccd
	s_waitcnt vmcnt(3) lgkmcnt(14)
	v_mul_f64 v[94:95], v[64:65], v[88:89]
	s_waitcnt vmcnt(2)
	v_accvgpr_write_b32 a86, v100
	v_accvgpr_write_b32 a87, v101
	s_waitcnt vmcnt(0)
	v_mul_f64 v[84:85], v[78:79], v[112:113]
	v_fma_f64 v[84:85], v[76:77], v[110:111], -v[84:85]
	v_mul_f64 v[76:77], v[76:77], v[112:113]
	v_accvgpr_write_b32 a94, v110
	v_fmac_f64_e32 v[76:77], v[78:79], v[110:111]
	v_accvgpr_write_b32 a95, v111
	v_accvgpr_write_b32 a96, v112
	;; [unrolled: 1-line block ×3, first 2 shown]
	v_mov_b64_e32 v[112:113], v[92:93]
	v_mov_b64_e32 v[110:111], v[90:91]
	v_mul_f64 v[78:79], v[74:75], v[112:113]
	v_fma_f64 v[98:99], v[72:73], v[110:111], -v[78:79]
	v_mul_f64 v[92:93], v[72:73], v[112:113]
	v_mul_f64 v[72:73], v[70:71], v[102:103]
	v_fmac_f64_e32 v[92:93], v[74:75], v[110:111]
	v_accvgpr_write_b32 a90, v110
	v_fma_f64 v[74:75], v[68:69], v[100:101], -v[72:73]
	v_mul_f64 v[72:73], v[68:69], v[102:103]
	v_mul_f64 v[68:69], v[66:67], v[88:89]
	v_accvgpr_write_b32 a91, v111
	v_accvgpr_write_b32 a92, v112
	v_accvgpr_write_b32 a93, v113
	v_fmac_f64_e32 v[72:73], v[70:71], v[100:101]
	v_accvgpr_write_b32 a88, v102
	v_accvgpr_write_b32 a89, v103
	v_fma_f64 v[100:101], v[64:65], v[86:87], -v[68:69]
	v_fmac_f64_e32 v[94:95], v[66:67], v[86:87]
	global_load_dwordx4 v[66:69], v[96:97], off offset:112
	global_load_dwordx4 v[114:117], v[96:97], off offset:96
	;; [unrolled: 1-line block ×4, first 2 shown]
	v_accvgpr_write_b32 a82, v86
	v_accvgpr_write_b32 a83, v87
	v_accvgpr_write_b32 a84, v88
	v_accvgpr_write_b32 a85, v89
	s_waitcnt vmcnt(3)
	v_accvgpr_write_b32 a101, v69
	s_waitcnt vmcnt(2) lgkmcnt(12)
	v_mul_f64 v[86:87], v[52:53], v[116:117]
	v_accvgpr_write_b32 a102, v114
	s_waitcnt vmcnt(0)
	v_mul_f64 v[64:65], v[62:63], v[112:113]
	v_mul_f64 v[78:79], v[60:61], v[112:113]
	v_fma_f64 v[88:89], v[60:61], v[110:111], -v[64:65]
	v_fmac_f64_e32 v[78:79], v[62:63], v[110:111]
	v_mov_b64_e32 v[62:63], v[102:103]
	v_mov_b64_e32 v[64:65], v[104:105]
	v_accvgpr_write_b32 a110, v110
	v_mul_f64 v[60:61], v[58:59], v[64:65]
	v_accvgpr_write_b32 a111, v111
	v_accvgpr_write_b32 a112, v112
	;; [unrolled: 1-line block ×3, first 2 shown]
	v_fma_f64 v[112:113], v[56:57], v[62:63], -v[60:61]
	v_mul_f64 v[104:105], v[56:57], v[64:65]
	v_mul_f64 v[56:57], v[54:55], v[116:117]
	v_fma_f64 v[90:91], v[52:53], v[114:115], -v[56:57]
	s_waitcnt lgkmcnt(11)
	v_mul_f64 v[52:53], v[50:51], v[68:69]
	v_mul_f64 v[110:111], v[48:49], v[68:69]
	v_fmac_f64_e32 v[86:87], v[54:55], v[114:115]
	v_accvgpr_write_b32 a103, v115
	v_accvgpr_write_b32 a104, v116
	;; [unrolled: 1-line block ×3, first 2 shown]
	v_fma_f64 v[114:115], v[48:49], v[66:67], -v[52:53]
	v_fmac_f64_e32 v[110:111], v[50:51], v[66:67]
	global_load_dwordx4 v[50:53], v[96:97], off offset:128
	v_accvgpr_write_b32 a109, v65
	v_fmac_f64_e32 v[104:105], v[58:59], v[62:63]
	v_accvgpr_write_b32 a108, v64
	v_accvgpr_write_b32 a107, v63
	;; [unrolled: 1-line block ×6, first 2 shown]
	s_waitcnt vmcnt(0) lgkmcnt(10)
	v_mul_f64 v[48:49], v[46:47], v[52:53]
	v_fma_f64 v[102:103], v[44:45], v[50:51], -v[48:49]
	v_mul_f64 v[96:97], v[44:45], v[52:53]
	v_mul_u32_u24_sdwa v44, v82, s25 dst_sel:DWORD dst_unused:UNUSED_PAD src0_sel:WORD_0 src1_sel:DWORD
	v_lshrrev_b32_e32 v120, 19, v44
	v_mul_lo_u16_e32 v44, 10, v120
	v_sub_u16_e32 v121, v82, v44
	v_accvgpr_write_b32 a117, v53
	v_mul_lo_u16_e32 v44, 0x90, v121
	v_mov_b32_e32 v45, v109
	v_accvgpr_write_b32 a116, v52
	v_accvgpr_write_b32 a115, v51
	;; [unrolled: 1-line block ×3, first 2 shown]
	v_lshl_add_u64 v[52:53], s[6:7], 0, v[44:45]
	v_fmac_f64_e32 v[96:97], v[46:47], v[50:51]
	global_load_dwordx4 v[46:49], v[52:53], off offset:48
	global_load_dwordx4 v[58:61], v[52:53], off offset:32
	;; [unrolled: 1-line block ×3, first 2 shown]
	global_load_dwordx4 v[66:69], v[52:53], off
	s_movk_i32 s25, 0x64
	v_cmp_gt_u16_e32 vcc, s25, v148
	s_waitcnt vmcnt(3)
	v_accvgpr_write_b32 a137, v49
	s_waitcnt vmcnt(2)
	v_accvgpr_write_b32 a141, v61
	v_accvgpr_write_b32 a140, v60
	s_waitcnt vmcnt(0) lgkmcnt(8)
	v_mul_f64 v[44:45], v[42:43], v[68:69]
	v_mul_f64 v[54:55], v[40:41], v[68:69]
	v_fma_f64 v[50:51], v[40:41], v[66:67], -v[44:45]
	v_fmac_f64_e32 v[54:55], v[42:43], v[66:67]
	v_mov_b64_e32 v[42:43], v[62:63]
	v_mov_b64_e32 v[44:45], v[64:65]
	s_waitcnt lgkmcnt(7)
	v_mul_f64 v[40:41], v[38:39], v[44:45]
	v_fma_f64 v[64:65], v[36:37], v[42:43], -v[40:41]
	v_mul_f64 v[56:57], v[36:37], v[44:45]
	v_accvgpr_write_b32 a149, v45
	s_waitcnt lgkmcnt(6)
	v_mul_f64 v[36:37], v[34:35], v[60:61]
	v_accvgpr_write_b32 a148, v44
	v_accvgpr_write_b32 a147, v43
	;; [unrolled: 1-line block ×3, first 2 shown]
	v_fma_f64 v[44:45], v[32:33], v[58:59], -v[36:37]
	v_mul_f64 v[36:37], v[32:33], v[60:61]
	v_accvgpr_write_b32 a153, v69
	v_fmac_f64_e32 v[36:37], v[34:35], v[58:59]
	v_accvgpr_write_b32 a139, v59
	v_accvgpr_write_b32 a138, v58
	s_waitcnt lgkmcnt(5)
	v_mul_f64 v[32:33], v[30:31], v[48:49]
	v_mul_f64 v[58:59], v[28:29], v[48:49]
	v_accvgpr_write_b32 a152, v68
	v_accvgpr_write_b32 a151, v67
	;; [unrolled: 1-line block ×3, first 2 shown]
	v_fmac_f64_e32 v[56:57], v[38:39], v[42:43]
	v_fma_f64 v[66:67], v[28:29], v[46:47], -v[32:33]
	v_fmac_f64_e32 v[58:59], v[30:31], v[46:47]
	global_load_dwordx4 v[30:33], v[52:53], off offset:112
	global_load_dwordx4 v[40:43], v[52:53], off offset:96
	;; [unrolled: 1-line block ×4, first 2 shown]
	v_accvgpr_write_b32 a136, v48
	v_accvgpr_write_b32 a135, v47
	;; [unrolled: 1-line block ×3, first 2 shown]
	s_waitcnt vmcnt(3)
	v_accvgpr_write_b32 a125, v33
	v_accvgpr_write_b32 a124, v32
	;; [unrolled: 1-line block ×3, first 2 shown]
	s_waitcnt vmcnt(0) lgkmcnt(4)
	v_mul_f64 v[28:29], v[26:27], v[70:71]
	v_mul_f64 v[38:39], v[24:25], v[70:71]
	v_fma_f64 v[46:47], v[24:25], v[68:69], -v[28:29]
	v_fmac_f64_e32 v[38:39], v[26:27], v[68:69]
	v_mov_b64_e32 v[26:27], v[60:61]
	v_mov_b64_e32 v[28:29], v[62:63]
	v_accvgpr_write_b32 a145, v71
	s_waitcnt lgkmcnt(3)
	v_mul_f64 v[24:25], v[22:23], v[28:29]
	v_mul_f64 v[60:61], v[20:21], v[28:29]
	v_accvgpr_write_b32 a144, v70
	v_accvgpr_write_b32 a143, v69
	;; [unrolled: 1-line block ×3, first 2 shown]
	v_fma_f64 v[68:69], v[20:21], v[26:27], -v[24:25]
	v_fmac_f64_e32 v[60:61], v[22:23], v[26:27]
	v_mov_b64_e32 v[22:23], v[40:41]
	v_mov_b64_e32 v[24:25], v[42:43]
	s_waitcnt lgkmcnt(2)
	v_mul_f64 v[20:21], v[18:19], v[24:25]
	v_fma_f64 v[48:49], v[16:17], v[22:23], -v[20:21]
	v_mul_f64 v[40:41], v[16:17], v[24:25]
	s_waitcnt lgkmcnt(1)
	v_mul_f64 v[16:17], v[14:15], v[32:33]
	v_mul_f64 v[62:63], v[12:13], v[32:33]
	v_fma_f64 v[70:71], v[12:13], v[30:31], -v[16:17]
	v_fmac_f64_e32 v[62:63], v[14:15], v[30:31]
	global_load_dwordx4 v[14:17], v[52:53], off offset:128
	v_accvgpr_write_b32 a133, v29
	v_accvgpr_write_b32 a132, v28
	;; [unrolled: 1-line block ×6, first 2 shown]
	v_fmac_f64_e32 v[40:41], v[18:19], v[22:23]
	v_accvgpr_write_b32 a128, v24
	v_accvgpr_write_b32 a127, v23
	;; [unrolled: 1-line block ×3, first 2 shown]
	v_add_f64 v[18:19], v[96:97], -v[86:87]
	s_waitcnt lgkmcnt(0)
	s_barrier
	s_waitcnt vmcnt(0)
	v_mul_f64 v[12:13], v[10:11], v[16:17]
	v_fma_f64 v[52:53], v[8:9], v[14:15], -v[12:13]
	v_mul_f64 v[42:43], v[8:9], v[16:17]
	v_add_f64 v[8:9], v[4:5], v[98:99]
	v_add_f64 v[8:9], v[8:9], v[100:101]
	;; [unrolled: 1-line block ×5, first 2 shown]
	v_accvgpr_write_b32 a121, v17
	v_fma_f64 v[30:31], -0.5, v[8:9], v[4:5]
	v_add_f64 v[8:9], v[92:93], -v[110:111]
	v_fmac_f64_e32 v[42:43], v[10:11], v[14:15]
	v_accvgpr_write_b32 a120, v16
	v_accvgpr_write_b32 a119, v15
	;; [unrolled: 1-line block ×3, first 2 shown]
	v_fma_f64 v[32:33], s[4:5], v[8:9], v[30:31]
	v_add_f64 v[10:11], v[94:95], -v[104:105]
	v_add_f64 v[12:13], v[98:99], -v[100:101]
	v_add_f64 v[14:15], v[114:115], -v[112:113]
	v_fmac_f64_e32 v[30:31], s[10:11], v[8:9]
	v_fmac_f64_e32 v[32:33], s[2:3], v[10:11]
	v_add_f64 v[12:13], v[12:13], v[14:15]
	v_fmac_f64_e32 v[30:31], s[12:13], v[10:11]
	v_fmac_f64_e32 v[32:33], s[8:9], v[12:13]
	v_fmac_f64_e32 v[30:31], s[8:9], v[12:13]
	v_add_f64 v[12:13], v[98:99], v[114:115]
	v_fmac_f64_e32 v[4:5], -0.5, v[12:13]
	v_fma_f64 v[118:119], s[10:11], v[10:11], v[4:5]
	v_fmac_f64_e32 v[4:5], s[4:5], v[10:11]
	v_fmac_f64_e32 v[118:119], s[2:3], v[8:9]
	v_fmac_f64_e32 v[4:5], s[12:13], v[8:9]
	v_add_f64 v[8:9], v[6:7], v[92:93]
	v_add_f64 v[8:9], v[8:9], v[94:95]
	v_add_f64 v[8:9], v[8:9], v[104:105]
	v_add_f64 v[12:13], v[100:101], -v[98:99]
	v_add_f64 v[14:15], v[112:113], -v[114:115]
	v_add_f64 v[34:35], v[8:9], v[110:111]
	v_add_f64 v[8:9], v[94:95], v[104:105]
	v_add_f64 v[12:13], v[12:13], v[14:15]
	v_fma_f64 v[116:117], -0.5, v[8:9], v[6:7]
	v_add_f64 v[8:9], v[98:99], -v[114:115]
	v_fmac_f64_e32 v[118:119], s[8:9], v[12:13]
	v_fmac_f64_e32 v[4:5], s[8:9], v[12:13]
	v_fma_f64 v[98:99], s[10:11], v[8:9], v[116:117]
	v_add_f64 v[10:11], v[100:101], -v[112:113]
	v_add_f64 v[12:13], v[92:93], -v[94:95]
	v_add_f64 v[14:15], v[110:111], -v[104:105]
	v_fmac_f64_e32 v[116:117], s[4:5], v[8:9]
	v_fmac_f64_e32 v[98:99], s[12:13], v[10:11]
	v_add_f64 v[12:13], v[12:13], v[14:15]
	v_fmac_f64_e32 v[116:117], s[2:3], v[10:11]
	v_fmac_f64_e32 v[98:99], s[8:9], v[12:13]
	v_fmac_f64_e32 v[116:117], s[8:9], v[12:13]
	v_add_f64 v[12:13], v[92:93], v[110:111]
	v_fmac_f64_e32 v[6:7], -0.5, v[12:13]
	v_fma_f64 v[100:101], s[4:5], v[10:11], v[6:7]
	v_fmac_f64_e32 v[6:7], s[10:11], v[10:11]
	v_fmac_f64_e32 v[100:101], s[12:13], v[8:9]
	v_fmac_f64_e32 v[6:7], s[2:3], v[8:9]
	v_add_f64 v[8:9], v[84:85], v[74:75]
	v_add_f64 v[8:9], v[8:9], v[88:89]
	v_add_f64 v[8:9], v[8:9], v[90:91]
	v_add_f64 v[12:13], v[94:95], -v[92:93]
	v_add_f64 v[14:15], v[104:105], -v[110:111]
	v_add_f64 v[92:93], v[8:9], v[102:103]
	v_add_f64 v[8:9], v[88:89], v[90:91]
	v_add_f64 v[12:13], v[12:13], v[14:15]
	v_fma_f64 v[22:23], -0.5, v[8:9], v[84:85]
	v_add_f64 v[8:9], v[72:73], -v[96:97]
	v_fmac_f64_e32 v[100:101], s[8:9], v[12:13]
	v_fmac_f64_e32 v[6:7], s[8:9], v[12:13]
	;; [unrolled: 28-line block ×3, first 2 shown]
	v_fma_f64 v[14:15], s[10:11], v[8:9], v[104:105]
	v_add_f64 v[12:13], v[88:89], -v[90:91]
	v_add_f64 v[16:17], v[72:73], -v[78:79]
	v_fmac_f64_e32 v[104:105], s[4:5], v[8:9]
	v_fmac_f64_e32 v[14:15], s[12:13], v[12:13]
	v_add_f64 v[16:17], v[16:17], v[18:19]
	v_fmac_f64_e32 v[104:105], s[2:3], v[12:13]
	v_fmac_f64_e32 v[14:15], s[8:9], v[16:17]
	;; [unrolled: 1-line block ×3, first 2 shown]
	v_add_f64 v[16:17], v[72:73], v[96:97]
	v_fmac_f64_e32 v[76:77], -0.5, v[16:17]
	v_fma_f64 v[74:75], s[4:5], v[12:13], v[76:77]
	v_add_f64 v[16:17], v[78:79], -v[72:73]
	v_add_f64 v[18:19], v[86:87], -v[96:97]
	v_fmac_f64_e32 v[76:77], s[10:11], v[12:13]
	v_mul_f64 v[72:73], v[14:15], s[2:3]
	v_fmac_f64_e32 v[74:75], s[12:13], v[8:9]
	v_add_f64 v[16:17], v[16:17], v[18:19]
	v_fmac_f64_e32 v[76:77], s[2:3], v[8:9]
	v_fmac_f64_e32 v[72:73], s[18:19], v[10:11]
	v_fmac_f64_e32 v[74:75], s[8:9], v[16:17]
	v_fmac_f64_e32 v[76:77], s[8:9], v[16:17]
	v_add_f64 v[12:13], v[32:33], v[72:73]
	v_mul_f64 v[96:97], v[26:27], s[10:11]
	v_add_f64 v[32:33], v[32:33], -v[72:73]
	v_add_f64 v[72:73], v[0:1], v[64:65]
	v_mul_f64 v[78:79], v[74:75], s[4:5]
	v_mul_f64 v[86:87], v[84:85], s[14:15]
	v_fmac_f64_e32 v[96:97], s[8:9], v[74:75]
	v_mul_f64 v[74:75], v[76:77], s[14:15]
	v_add_f64 v[72:73], v[72:73], v[66:67]
	v_fmac_f64_e32 v[86:87], s[4:5], v[76:77]
	v_fmac_f64_e32 v[74:75], s[10:11], v[84:85]
	v_mul_f64 v[76:77], v[104:105], s[16:17]
	v_add_f64 v[72:73], v[72:73], v[68:69]
	v_fmac_f64_e32 v[78:79], s[8:9], v[26:27]
	v_mul_f64 v[88:89], v[22:23], s[16:17]
	v_add_f64 v[26:27], v[6:7], v[74:75]
	v_fmac_f64_e32 v[76:77], s[12:13], v[22:23]
	v_add_f64 v[158:159], v[6:7], -v[74:75]
	v_add_f64 v[74:75], v[72:73], v[70:71]
	v_add_f64 v[72:73], v[66:67], v[68:69]
	v_fmac_f64_e32 v[88:89], s[2:3], v[104:105]
	v_add_f64 v[22:23], v[116:117], v[76:77]
	v_add_f64 v[6:7], v[116:117], -v[76:77]
	v_fma_f64 v[76:77], -0.5, v[72:73], v[0:1]
	v_add_f64 v[72:73], v[56:57], -v[62:63]
	v_add_f64 v[16:17], v[28:29], v[92:93]
	v_add_f64 v[8:9], v[118:119], v[78:79]
	;; [unrolled: 1-line block ×4, first 2 shown]
	v_add_f64 v[152:153], v[28:29], -v[92:93]
	v_add_f64 v[28:29], v[118:119], -v[78:79]
	;; [unrolled: 1-line block ×4, first 2 shown]
	v_fma_f64 v[84:85], s[4:5], v[72:73], v[76:77]
	v_add_f64 v[78:79], v[58:59], -v[60:61]
	v_add_f64 v[86:87], v[64:65], -v[66:67]
	v_add_f64 v[88:89], v[70:71], -v[68:69]
	v_fmac_f64_e32 v[76:77], s[10:11], v[72:73]
	v_fmac_f64_e32 v[84:85], s[2:3], v[78:79]
	v_add_f64 v[86:87], v[86:87], v[88:89]
	v_fmac_f64_e32 v[76:77], s[12:13], v[78:79]
	v_fmac_f64_e32 v[84:85], s[8:9], v[86:87]
	;; [unrolled: 1-line block ×3, first 2 shown]
	v_add_f64 v[86:87], v[64:65], v[70:71]
	v_fmac_f64_e32 v[0:1], -0.5, v[86:87]
	v_mul_f64 v[90:91], v[10:11], s[12:13]
	v_fma_f64 v[88:89], s[10:11], v[78:79], v[0:1]
	v_fmac_f64_e32 v[0:1], s[4:5], v[78:79]
	v_fmac_f64_e32 v[90:91], s[18:19], v[14:15]
	v_fmac_f64_e32 v[88:89], s[2:3], v[72:73]
	v_fmac_f64_e32 v[0:1], s[12:13], v[72:73]
	v_add_f64 v[72:73], v[2:3], v[56:57]
	v_add_f64 v[18:19], v[34:35], v[94:95]
	;; [unrolled: 1-line block ×3, first 2 shown]
	v_add_f64 v[154:155], v[34:35], -v[94:95]
	v_add_f64 v[34:35], v[98:99], -v[90:91]
	;; [unrolled: 1-line block ×4, first 2 shown]
	v_add_f64 v[72:73], v[72:73], v[58:59]
	v_add_f64 v[86:87], v[86:87], v[90:91]
	;; [unrolled: 1-line block ×3, first 2 shown]
	v_fmac_f64_e32 v[88:89], s[8:9], v[86:87]
	v_fmac_f64_e32 v[0:1], s[8:9], v[86:87]
	v_add_f64 v[86:87], v[72:73], v[62:63]
	v_add_f64 v[72:73], v[58:59], v[60:61]
	v_fma_f64 v[72:73], -0.5, v[72:73], v[2:3]
	v_add_f64 v[64:65], v[64:65], -v[70:71]
	v_fma_f64 v[70:71], s[10:11], v[64:65], v[72:73]
	v_add_f64 v[66:67], v[66:67], -v[68:69]
	v_add_f64 v[68:69], v[56:57], -v[58:59]
	;; [unrolled: 1-line block ×3, first 2 shown]
	v_fmac_f64_e32 v[72:73], s[4:5], v[64:65]
	v_fmac_f64_e32 v[70:71], s[12:13], v[66:67]
	v_add_f64 v[68:69], v[68:69], v[78:79]
	v_fmac_f64_e32 v[72:73], s[2:3], v[66:67]
	v_fmac_f64_e32 v[70:71], s[8:9], v[68:69]
	;; [unrolled: 1-line block ×3, first 2 shown]
	v_add_f64 v[68:69], v[56:57], v[62:63]
	v_add_f64 v[56:57], v[58:59], -v[56:57]
	v_add_f64 v[58:59], v[60:61], -v[62:63]
	v_fmac_f64_e32 v[2:3], -0.5, v[68:69]
	v_add_f64 v[56:57], v[56:57], v[58:59]
	v_add_f64 v[58:59], v[46:47], v[48:49]
	v_fma_f64 v[90:91], s[4:5], v[66:67], v[2:3]
	v_fmac_f64_e32 v[2:3], s[10:11], v[66:67]
	v_fma_f64 v[58:59], -0.5, v[58:59], v[50:51]
	v_add_f64 v[60:61], v[36:37], -v[42:43]
	v_fmac_f64_e32 v[90:91], s[12:13], v[64:65]
	v_fmac_f64_e32 v[2:3], s[2:3], v[64:65]
	v_fma_f64 v[64:65], s[4:5], v[60:61], v[58:59]
	v_add_f64 v[62:63], v[38:39], -v[40:41]
	v_add_f64 v[66:67], v[44:45], -v[46:47]
	;; [unrolled: 1-line block ×3, first 2 shown]
	v_fmac_f64_e32 v[58:59], s[10:11], v[60:61]
	v_fmac_f64_e32 v[64:65], s[2:3], v[62:63]
	v_add_f64 v[66:67], v[66:67], v[68:69]
	v_fmac_f64_e32 v[58:59], s[12:13], v[62:63]
	v_fmac_f64_e32 v[64:65], s[8:9], v[66:67]
	;; [unrolled: 1-line block ×3, first 2 shown]
	v_add_f64 v[66:67], v[44:45], v[52:53]
	v_fmac_f64_e32 v[90:91], s[8:9], v[56:57]
	v_fmac_f64_e32 v[2:3], s[8:9], v[56:57]
	v_add_f64 v[56:57], v[50:51], v[44:45]
	v_fmac_f64_e32 v[50:51], -0.5, v[66:67]
	v_fma_f64 v[66:67], s[10:11], v[62:63], v[50:51]
	v_fmac_f64_e32 v[50:51], s[4:5], v[62:63]
	v_fmac_f64_e32 v[66:67], s[2:3], v[60:61]
	;; [unrolled: 1-line block ×3, first 2 shown]
	v_add_f64 v[60:61], v[54:55], v[36:37]
	v_add_f64 v[60:61], v[60:61], v[38:39]
	;; [unrolled: 1-line block ×4, first 2 shown]
	v_add_f64 v[68:69], v[46:47], -v[44:45]
	v_add_f64 v[78:79], v[48:49], -v[52:53]
	v_add_f64 v[62:63], v[60:61], v[42:43]
	v_add_f64 v[60:61], v[38:39], v[40:41]
	;; [unrolled: 1-line block ×4, first 2 shown]
	v_fma_f64 v[60:61], -0.5, v[60:61], v[54:55]
	v_add_f64 v[44:45], v[44:45], -v[52:53]
	v_add_f64 v[56:57], v[56:57], v[52:53]
	v_fmac_f64_e32 v[66:67], s[8:9], v[68:69]
	v_fmac_f64_e32 v[50:51], s[8:9], v[68:69]
	v_fma_f64 v[68:69], s[10:11], v[44:45], v[60:61]
	v_add_f64 v[46:47], v[46:47], -v[48:49]
	v_add_f64 v[48:49], v[36:37], -v[38:39]
	;; [unrolled: 1-line block ×3, first 2 shown]
	v_fmac_f64_e32 v[60:61], s[4:5], v[44:45]
	v_fmac_f64_e32 v[68:69], s[12:13], v[46:47]
	v_add_f64 v[48:49], v[48:49], v[52:53]
	v_fmac_f64_e32 v[60:61], s[2:3], v[46:47]
	v_fmac_f64_e32 v[68:69], s[8:9], v[48:49]
	;; [unrolled: 1-line block ×3, first 2 shown]
	v_add_f64 v[48:49], v[36:37], v[42:43]
	v_fmac_f64_e32 v[54:55], -0.5, v[48:49]
	v_fma_f64 v[78:79], s[4:5], v[46:47], v[54:55]
	v_add_f64 v[36:37], v[38:39], -v[36:37]
	v_add_f64 v[38:39], v[40:41], -v[42:43]
	v_fmac_f64_e32 v[54:55], s[10:11], v[46:47]
	v_fmac_f64_e32 v[78:79], s[12:13], v[44:45]
	v_add_f64 v[36:37], v[36:37], v[38:39]
	v_fmac_f64_e32 v[54:55], s[2:3], v[44:45]
	v_fmac_f64_e32 v[78:79], s[8:9], v[36:37]
	;; [unrolled: 1-line block ×3, first 2 shown]
	v_mul_f64 v[102:103], v[66:67], s[10:11]
	v_add_f64 v[10:11], v[100:101], v[96:97]
	v_add_f64 v[30:31], v[100:101], -v[96:97]
	v_mul_f64 v[94:95], v[78:79], s[4:5]
	v_mul_f64 v[100:101], v[64:65], s[12:13]
	v_fmac_f64_e32 v[102:103], s[8:9], v[78:79]
	v_mul_f64 v[104:105], v[54:55], s[14:15]
	v_mul_f64 v[78:79], v[60:61], s[16:17]
	;; [unrolled: 1-line block ×3, first 2 shown]
	v_fmac_f64_e32 v[100:101], s[18:19], v[68:69]
	v_fmac_f64_e32 v[104:105], s[10:11], v[50:51]
	;; [unrolled: 1-line block ×3, first 2 shown]
	v_mul_f64 v[92:93], v[68:69], s[2:3]
	v_fmac_f64_e32 v[94:95], s[8:9], v[66:67]
	v_fmac_f64_e32 v[96:97], s[4:5], v[54:55]
	v_add_f64 v[46:47], v[86:87], v[62:63]
	v_add_f64 v[42:43], v[70:71], v[100:101]
	;; [unrolled: 1-line block ×4, first 2 shown]
	v_add_f64 v[66:67], v[86:87], -v[62:63]
	v_add_f64 v[62:63], v[70:71], -v[100:101]
	;; [unrolled: 1-line block ×4, first 2 shown]
	v_mul_u32_u24_e32 v72, 0x64, v83
	v_add_u32_e32 v83, 0xffffff9c, v148
	v_fmac_f64_e32 v[92:93], s[18:19], v[64:65]
	v_mul_f64 v[98:99], v[58:59], s[16:17]
	v_add_lshl_u32 v136, v72, v107, 4
	v_cndmask_b32_e32 v118, v83, v148, vcc
	v_add_f64 v[40:41], v[84:85], v[92:93]
	v_fmac_f64_e32 v[98:99], s[2:3], v[60:61]
	v_add_f64 v[60:61], v[84:85], -v[92:93]
	ds_write_b128 v136, v[16:19]
	ds_write_b128 v136, v[12:15] offset:160
	ds_write_b128 v136, v[8:11] offset:320
	;; [unrolled: 1-line block ×9, first 2 shown]
	v_mad_legacy_u16 v4, v120, s25, v121
	v_mul_hi_i32_i24_e32 v85, 0x90, v118
	v_mul_i32_i24_e32 v84, 0x90, v118
	v_add_f64 v[44:45], v[74:75], v[56:57]
	v_add_f64 v[36:37], v[88:89], v[94:95]
	;; [unrolled: 1-line block ×5, first 2 shown]
	v_add_f64 v[64:65], v[74:75], -v[56:57]
	v_add_f64 v[56:57], v[88:89], -v[94:95]
	v_add_f64 v[68:69], v[0:1], -v[96:97]
	v_add_f64 v[0:1], v[76:77], -v[98:99]
	v_add_f64 v[58:59], v[90:91], -v[102:103]
	v_lshlrev_b32_e32 v107, 4, v4
	v_lshl_add_u64 v[88:89], s[6:7], 0, v[84:85]
	ds_write_b128 v107, v[44:47]
	ds_write_b128 v107, v[40:43] offset:160
	ds_write_b128 v107, v[36:39] offset:320
	;; [unrolled: 1-line block ×9, first 2 shown]
	s_waitcnt lgkmcnt(0)
	s_barrier
	ds_read_b128 v[16:19], v108
	ds_read_b128 v[76:79], v108 offset:6400
	ds_read_b128 v[72:75], v108 offset:12800
	;; [unrolled: 1-line block ×19, first 2 shown]
	global_load_dwordx4 v[94:97], v[88:89], off offset:1488
	global_load_dwordx4 v[102:105], v[88:89], off offset:1472
	;; [unrolled: 1-line block ×4, first 2 shown]
	s_movk_i32 s25, 0x63
	v_cmp_lt_u16_e32 vcc, s25, v148
	s_movk_i32 s25, 0x3e8
	s_waitcnt vmcnt(3)
	v_mov_b64_e32 v[98:99], v[96:97]
	s_waitcnt vmcnt(2)
	v_accvgpr_write_b32 a161, v105
	s_waitcnt vmcnt(1) lgkmcnt(14)
	v_mul_f64 v[92:93], v[72:73], v[154:155]
	s_waitcnt vmcnt(0)
	v_mul_f64 v[84:85], v[78:79], v[178:179]
	v_fma_f64 v[84:85], v[76:77], v[176:177], -v[84:85]
	v_mul_f64 v[76:77], v[76:77], v[178:179]
	v_fmac_f64_e32 v[76:77], v[78:79], v[176:177]
	v_mul_f64 v[78:79], v[74:75], v[154:155]
	v_fma_f64 v[100:101], v[72:73], v[152:153], -v[78:79]
	v_mul_f64 v[72:73], v[70:71], v[104:105]
	v_fmac_f64_e32 v[92:93], v[74:75], v[152:153]
	v_fma_f64 v[74:75], v[68:69], v[102:103], -v[72:73]
	v_mul_f64 v[72:73], v[68:69], v[104:105]
	v_mov_b64_e32 v[96:97], v[94:95]
	v_mul_f64 v[68:69], v[66:67], v[98:99]
	v_mul_f64 v[94:95], v[64:65], v[98:99]
	v_fmac_f64_e32 v[72:73], v[70:71], v[102:103]
	v_accvgpr_write_b32 a160, v104
	v_accvgpr_write_b32 a159, v103
	;; [unrolled: 1-line block ×3, first 2 shown]
	v_fma_f64 v[102:103], v[64:65], v[96:97], -v[68:69]
	v_fmac_f64_e32 v[94:95], v[66:67], v[96:97]
	global_load_dwordx4 v[66:69], v[88:89], off offset:1552
	global_load_dwordx4 v[156:159], v[88:89], off offset:1536
	;; [unrolled: 1-line block ×5, first 2 shown]
	v_accvgpr_write_b32 a157, v99
	v_accvgpr_write_b32 a156, v98
	;; [unrolled: 1-line block ×4, first 2 shown]
	s_waitcnt vmcnt(4) lgkmcnt(11)
	v_mul_f64 v[110:111], v[48:49], v[68:69]
	s_waitcnt vmcnt(3)
	v_mul_f64 v[86:87], v[52:53], v[158:159]
	s_waitcnt vmcnt(2)
	;; [unrolled: 2-line block ×3, first 2 shown]
	v_mul_f64 v[64:65], v[62:63], v[182:183]
	v_fma_f64 v[90:91], v[60:61], v[180:181], -v[64:65]
	v_mul_f64 v[78:79], v[60:61], v[182:183]
	v_mul_f64 v[60:61], v[58:59], v[174:175]
	v_fma_f64 v[112:113], v[56:57], v[172:173], -v[60:61]
	v_mul_f64 v[56:57], v[54:55], v[158:159]
	v_fma_f64 v[96:97], v[52:53], v[156:157], -v[56:57]
	;; [unrolled: 2-line block ×3, first 2 shown]
	s_waitcnt vmcnt(0) lgkmcnt(10)
	v_mul_f64 v[48:49], v[46:47], v[186:187]
	v_fma_f64 v[98:99], v[44:45], v[184:185], -v[48:49]
	v_mul_f64 v[88:89], v[44:45], v[186:187]
	v_lshrrev_b16_e32 v44, 2, v82
	v_mul_u32_u24_e32 v44, 0x147b, v44
	v_lshrrev_b32_e32 v119, 17, v44
	v_mul_lo_u16_e32 v44, 0x64, v119
	v_sub_u16_e32 v120, v82, v44
	v_mul_lo_u16_e32 v44, 0x90, v120
	v_mov_b32_e32 v45, v109
	v_lshl_add_u64 v[52:53], s[6:7], 0, v[44:45]
	global_load_dwordx4 v[192:195], v[52:53], off offset:1488
	global_load_dwordx4 v[200:203], v[52:53], off offset:1472
	;; [unrolled: 1-line block ×9, first 2 shown]
	v_fmac_f64_e32 v[86:87], v[54:55], v[156:157]
	v_fmac_f64_e32 v[110:111], v[50:51], v[66:67]
	v_accvgpr_write_b32 a165, v69
	v_fmac_f64_e32 v[104:105], v[58:59], v[172:173]
	v_accvgpr_write_b32 a164, v68
	v_accvgpr_write_b32 a163, v67
	;; [unrolled: 1-line block ×3, first 2 shown]
	v_fmac_f64_e32 v[88:89], v[46:47], v[184:185]
	v_fmac_f64_e32 v[78:79], v[62:63], v[180:181]
	s_waitcnt lgkmcnt(0)
	s_barrier
	s_waitcnt vmcnt(8)
	v_mul_f64 v[58:59], v[28:29], v[194:195]
	s_waitcnt vmcnt(4)
	v_mul_f64 v[62:63], v[8:9], v[190:191]
	v_mul_f64 v[56:57], v[36:37], v[214:215]
	;; [unrolled: 1-line block ×3, first 2 shown]
	v_fma_f64 v[50:51], v[40:41], v[220:221], -v[44:45]
	v_mul_f64 v[54:55], v[40:41], v[222:223]
	v_mul_f64 v[40:41], v[38:39], v[214:215]
	v_fma_f64 v[64:65], v[36:37], v[212:213], -v[40:41]
	v_mul_f64 v[36:37], v[34:35], v[202:203]
	v_fma_f64 v[44:45], v[32:33], v[200:201], -v[36:37]
	v_mul_f64 v[36:37], v[32:33], v[202:203]
	v_mul_f64 v[32:33], v[30:31], v[194:195]
	v_fma_f64 v[66:67], v[28:29], v[192:193], -v[32:33]
	s_waitcnt vmcnt(1)
	v_mul_f64 v[28:29], v[26:27], v[218:219]
	v_fmac_f64_e32 v[56:57], v[38:39], v[212:213]
	v_fma_f64 v[46:47], v[24:25], v[216:217], -v[28:29]
	v_mul_f64 v[38:39], v[24:25], v[218:219]
	v_mul_f64 v[24:25], v[22:23], v[206:207]
	v_fma_f64 v[68:69], v[20:21], v[204:205], -v[24:25]
	v_mul_f64 v[60:61], v[20:21], v[206:207]
	v_mul_f64 v[20:21], v[14:15], v[198:199]
	;; [unrolled: 3-line block ×3, first 2 shown]
	v_fma_f64 v[70:71], v[8:9], v[188:189], -v[12:13]
	s_waitcnt vmcnt(0)
	v_mul_f64 v[8:9], v[6:7], v[210:211]
	v_fmac_f64_e32 v[54:55], v[42:43], v[220:221]
	v_fma_f64 v[52:53], v[4:5], v[208:209], -v[8:9]
	v_mul_f64 v[42:43], v[4:5], v[210:211]
	v_add_f64 v[4:5], v[16:17], v[100:101]
	v_add_f64 v[4:5], v[4:5], v[102:103]
	;; [unrolled: 1-line block ×5, first 2 shown]
	v_fmac_f64_e32 v[58:59], v[30:31], v[192:193]
	v_fma_f64 v[30:31], -0.5, v[4:5], v[16:17]
	v_add_f64 v[4:5], v[92:93], -v[110:111]
	v_fmac_f64_e32 v[62:63], v[10:11], v[188:189]
	v_fmac_f64_e32 v[42:43], v[6:7], v[208:209]
	v_fma_f64 v[32:33], s[4:5], v[4:5], v[30:31]
	v_add_f64 v[6:7], v[94:95], -v[104:105]
	v_add_f64 v[8:9], v[100:101], -v[102:103]
	;; [unrolled: 1-line block ×3, first 2 shown]
	v_fmac_f64_e32 v[30:31], s[10:11], v[4:5]
	v_fmac_f64_e32 v[32:33], s[2:3], v[6:7]
	v_add_f64 v[8:9], v[8:9], v[10:11]
	v_fmac_f64_e32 v[30:31], s[12:13], v[6:7]
	v_fmac_f64_e32 v[32:33], s[8:9], v[8:9]
	;; [unrolled: 1-line block ×3, first 2 shown]
	v_add_f64 v[8:9], v[100:101], v[114:115]
	v_fmac_f64_e32 v[16:17], -0.5, v[8:9]
	v_fma_f64 v[116:117], s[10:11], v[6:7], v[16:17]
	v_fmac_f64_e32 v[16:17], s[4:5], v[6:7]
	v_fmac_f64_e32 v[116:117], s[2:3], v[4:5]
	;; [unrolled: 1-line block ×3, first 2 shown]
	v_add_f64 v[4:5], v[18:19], v[92:93]
	v_add_f64 v[4:5], v[4:5], v[94:95]
	;; [unrolled: 1-line block ×3, first 2 shown]
	v_fmac_f64_e32 v[36:37], v[34:35], v[200:201]
	v_add_f64 v[8:9], v[102:103], -v[100:101]
	v_add_f64 v[10:11], v[112:113], -v[114:115]
	v_add_f64 v[34:35], v[4:5], v[110:111]
	v_add_f64 v[4:5], v[94:95], v[104:105]
	;; [unrolled: 1-line block ×3, first 2 shown]
	v_fma_f64 v[82:83], -0.5, v[4:5], v[18:19]
	v_add_f64 v[4:5], v[100:101], -v[114:115]
	v_fmac_f64_e32 v[116:117], s[8:9], v[8:9]
	v_fmac_f64_e32 v[16:17], s[8:9], v[8:9]
	v_fma_f64 v[100:101], s[10:11], v[4:5], v[82:83]
	v_add_f64 v[6:7], v[102:103], -v[112:113]
	v_add_f64 v[8:9], v[92:93], -v[94:95]
	;; [unrolled: 1-line block ×3, first 2 shown]
	v_fmac_f64_e32 v[82:83], s[4:5], v[4:5]
	v_fmac_f64_e32 v[100:101], s[12:13], v[6:7]
	v_add_f64 v[8:9], v[8:9], v[10:11]
	v_fmac_f64_e32 v[82:83], s[2:3], v[6:7]
	v_fmac_f64_e32 v[100:101], s[8:9], v[8:9]
	;; [unrolled: 1-line block ×3, first 2 shown]
	v_add_f64 v[8:9], v[92:93], v[110:111]
	v_fmac_f64_e32 v[18:19], -0.5, v[8:9]
	v_fma_f64 v[102:103], s[4:5], v[6:7], v[18:19]
	v_fmac_f64_e32 v[18:19], s[10:11], v[6:7]
	v_fmac_f64_e32 v[102:103], s[12:13], v[4:5]
	;; [unrolled: 1-line block ×3, first 2 shown]
	v_add_f64 v[4:5], v[84:85], v[74:75]
	v_add_f64 v[4:5], v[4:5], v[90:91]
	;; [unrolled: 1-line block ×3, first 2 shown]
	v_add_f64 v[8:9], v[94:95], -v[92:93]
	v_add_f64 v[10:11], v[104:105], -v[110:111]
	v_add_f64 v[92:93], v[4:5], v[98:99]
	v_add_f64 v[4:5], v[90:91], v[96:97]
	v_fmac_f64_e32 v[60:61], v[22:23], v[204:205]
	v_add_f64 v[8:9], v[8:9], v[10:11]
	v_fma_f64 v[22:23], -0.5, v[4:5], v[84:85]
	v_add_f64 v[4:5], v[72:73], -v[88:89]
	v_fmac_f64_e32 v[102:103], s[8:9], v[8:9]
	v_fmac_f64_e32 v[18:19], s[8:9], v[8:9]
	v_fma_f64 v[6:7], s[4:5], v[4:5], v[22:23]
	v_add_f64 v[8:9], v[78:79], -v[86:87]
	v_add_f64 v[10:11], v[74:75], -v[90:91]
	;; [unrolled: 1-line block ×3, first 2 shown]
	v_fmac_f64_e32 v[22:23], s[10:11], v[4:5]
	v_fmac_f64_e32 v[6:7], s[2:3], v[8:9]
	v_add_f64 v[10:11], v[10:11], v[12:13]
	v_fmac_f64_e32 v[22:23], s[12:13], v[8:9]
	v_fmac_f64_e32 v[6:7], s[8:9], v[10:11]
	;; [unrolled: 1-line block ×3, first 2 shown]
	v_add_f64 v[10:11], v[74:75], v[98:99]
	v_fmac_f64_e32 v[84:85], -0.5, v[10:11]
	v_fmac_f64_e32 v[38:39], v[26:27], v[216:217]
	v_fma_f64 v[26:27], s[10:11], v[8:9], v[84:85]
	v_fmac_f64_e32 v[84:85], s[4:5], v[8:9]
	v_fmac_f64_e32 v[26:27], s[2:3], v[4:5]
	;; [unrolled: 1-line block ×3, first 2 shown]
	v_add_f64 v[4:5], v[76:77], v[72:73]
	v_add_f64 v[4:5], v[4:5], v[78:79]
	;; [unrolled: 1-line block ×3, first 2 shown]
	v_add_f64 v[10:11], v[90:91], -v[74:75]
	v_add_f64 v[12:13], v[96:97], -v[98:99]
	v_add_f64 v[94:95], v[4:5], v[88:89]
	v_add_f64 v[4:5], v[78:79], v[86:87]
	;; [unrolled: 1-line block ×3, first 2 shown]
	v_fma_f64 v[104:105], -0.5, v[4:5], v[76:77]
	v_add_f64 v[4:5], v[74:75], -v[98:99]
	v_fmac_f64_e32 v[40:41], v[14:15], v[196:197]
	v_fmac_f64_e32 v[26:27], s[8:9], v[10:11]
	;; [unrolled: 1-line block ×3, first 2 shown]
	v_fma_f64 v[10:11], s[10:11], v[4:5], v[104:105]
	v_add_f64 v[8:9], v[90:91], -v[96:97]
	v_add_f64 v[12:13], v[72:73], -v[78:79]
	;; [unrolled: 1-line block ×3, first 2 shown]
	v_fmac_f64_e32 v[104:105], s[4:5], v[4:5]
	v_fmac_f64_e32 v[10:11], s[12:13], v[8:9]
	v_add_f64 v[12:13], v[12:13], v[14:15]
	v_fmac_f64_e32 v[104:105], s[2:3], v[8:9]
	v_fmac_f64_e32 v[10:11], s[8:9], v[12:13]
	;; [unrolled: 1-line block ×3, first 2 shown]
	v_add_f64 v[12:13], v[72:73], v[88:89]
	v_fmac_f64_e32 v[76:77], -0.5, v[12:13]
	v_fma_f64 v[74:75], s[4:5], v[8:9], v[76:77]
	v_add_f64 v[12:13], v[78:79], -v[72:73]
	v_add_f64 v[14:15], v[86:87], -v[88:89]
	v_fmac_f64_e32 v[76:77], s[10:11], v[8:9]
	v_mul_f64 v[72:73], v[10:11], s[2:3]
	v_fmac_f64_e32 v[74:75], s[12:13], v[4:5]
	v_add_f64 v[12:13], v[12:13], v[14:15]
	v_fmac_f64_e32 v[76:77], s[2:3], v[4:5]
	v_fmac_f64_e32 v[72:73], s[18:19], v[6:7]
	;; [unrolled: 1-line block ×4, first 2 shown]
	v_add_f64 v[8:9], v[32:33], v[72:73]
	v_mul_f64 v[96:97], v[26:27], s[10:11]
	v_add_f64 v[32:33], v[32:33], -v[72:73]
	v_add_f64 v[72:73], v[0:1], v[64:65]
	v_mul_f64 v[78:79], v[74:75], s[4:5]
	v_mul_f64 v[86:87], v[84:85], s[14:15]
	v_fmac_f64_e32 v[96:97], s[8:9], v[74:75]
	v_mul_f64 v[74:75], v[76:77], s[14:15]
	v_add_f64 v[72:73], v[72:73], v[66:67]
	v_fmac_f64_e32 v[86:87], s[4:5], v[76:77]
	v_fmac_f64_e32 v[74:75], s[10:11], v[84:85]
	v_mul_f64 v[76:77], v[104:105], s[16:17]
	v_add_f64 v[72:73], v[72:73], v[68:69]
	v_fmac_f64_e32 v[78:79], s[8:9], v[26:27]
	v_add_f64 v[26:27], v[18:19], v[74:75]
	v_fmac_f64_e32 v[76:77], s[12:13], v[22:23]
	v_add_f64 v[230:231], v[18:19], -v[74:75]
	v_add_f64 v[74:75], v[72:73], v[70:71]
	v_add_f64 v[72:73], v[66:67], v[68:69]
	v_mul_f64 v[88:89], v[22:23], s[16:17]
	v_add_f64 v[22:23], v[82:83], v[76:77]
	v_add_f64 v[18:19], v[82:83], -v[76:77]
	v_fma_f64 v[76:77], -0.5, v[72:73], v[0:1]
	v_add_f64 v[72:73], v[56:57], -v[62:63]
	v_add_f64 v[12:13], v[28:29], v[92:93]
	v_add_f64 v[4:5], v[116:117], v[78:79]
	;; [unrolled: 1-line block ×3, first 2 shown]
	v_add_f64 v[224:225], v[28:29], -v[92:93]
	v_add_f64 v[28:29], v[116:117], -v[78:79]
	v_add_f64 v[228:229], v[16:17], -v[86:87]
	v_fma_f64 v[82:83], s[4:5], v[72:73], v[76:77]
	v_add_f64 v[78:79], v[58:59], -v[60:61]
	v_add_f64 v[84:85], v[64:65], -v[66:67]
	;; [unrolled: 1-line block ×3, first 2 shown]
	v_fmac_f64_e32 v[76:77], s[10:11], v[72:73]
	v_fmac_f64_e32 v[82:83], s[2:3], v[78:79]
	v_add_f64 v[84:85], v[84:85], v[86:87]
	v_fmac_f64_e32 v[76:77], s[12:13], v[78:79]
	v_fmac_f64_e32 v[82:83], s[8:9], v[84:85]
	;; [unrolled: 1-line block ×3, first 2 shown]
	v_add_f64 v[84:85], v[64:65], v[70:71]
	v_fmac_f64_e32 v[0:1], -0.5, v[84:85]
	v_fma_f64 v[86:87], s[10:11], v[78:79], v[0:1]
	v_fmac_f64_e32 v[0:1], s[4:5], v[78:79]
	v_fmac_f64_e32 v[88:89], s[2:3], v[104:105]
	;; [unrolled: 1-line block ×4, first 2 shown]
	v_add_f64 v[72:73], v[2:3], v[56:57]
	v_add_f64 v[20:21], v[30:31], v[88:89]
	v_add_f64 v[16:17], v[30:31], -v[88:89]
	v_add_f64 v[84:85], v[66:67], -v[64:65]
	;; [unrolled: 1-line block ×3, first 2 shown]
	v_add_f64 v[72:73], v[72:73], v[58:59]
	v_add_f64 v[84:85], v[84:85], v[88:89]
	;; [unrolled: 1-line block ×3, first 2 shown]
	v_fmac_f64_e32 v[86:87], s[8:9], v[84:85]
	v_fmac_f64_e32 v[0:1], s[8:9], v[84:85]
	v_add_f64 v[84:85], v[72:73], v[62:63]
	v_add_f64 v[72:73], v[58:59], v[60:61]
	v_fma_f64 v[72:73], -0.5, v[72:73], v[2:3]
	v_add_f64 v[64:65], v[64:65], -v[70:71]
	v_fma_f64 v[70:71], s[10:11], v[64:65], v[72:73]
	v_add_f64 v[66:67], v[66:67], -v[68:69]
	v_add_f64 v[68:69], v[56:57], -v[58:59]
	;; [unrolled: 1-line block ×3, first 2 shown]
	v_fmac_f64_e32 v[72:73], s[4:5], v[64:65]
	v_fmac_f64_e32 v[70:71], s[12:13], v[66:67]
	v_add_f64 v[68:69], v[68:69], v[78:79]
	v_fmac_f64_e32 v[72:73], s[2:3], v[66:67]
	v_fmac_f64_e32 v[70:71], s[8:9], v[68:69]
	;; [unrolled: 1-line block ×3, first 2 shown]
	v_add_f64 v[68:69], v[56:57], v[62:63]
	v_add_f64 v[56:57], v[58:59], -v[56:57]
	v_add_f64 v[58:59], v[60:61], -v[62:63]
	v_fmac_f64_e32 v[2:3], -0.5, v[68:69]
	v_add_f64 v[56:57], v[56:57], v[58:59]
	v_add_f64 v[58:59], v[46:47], v[48:49]
	v_fma_f64 v[88:89], s[4:5], v[66:67], v[2:3]
	v_fmac_f64_e32 v[2:3], s[10:11], v[66:67]
	v_fma_f64 v[58:59], -0.5, v[58:59], v[50:51]
	v_add_f64 v[60:61], v[36:37], -v[42:43]
	v_fmac_f64_e32 v[88:89], s[12:13], v[64:65]
	v_fmac_f64_e32 v[2:3], s[2:3], v[64:65]
	v_fma_f64 v[64:65], s[4:5], v[60:61], v[58:59]
	v_add_f64 v[62:63], v[38:39], -v[40:41]
	v_add_f64 v[66:67], v[44:45], -v[46:47]
	;; [unrolled: 1-line block ×3, first 2 shown]
	v_fmac_f64_e32 v[58:59], s[10:11], v[60:61]
	v_fmac_f64_e32 v[64:65], s[2:3], v[62:63]
	v_add_f64 v[66:67], v[66:67], v[68:69]
	v_fmac_f64_e32 v[58:59], s[12:13], v[62:63]
	v_fmac_f64_e32 v[64:65], s[8:9], v[66:67]
	;; [unrolled: 1-line block ×3, first 2 shown]
	v_add_f64 v[66:67], v[44:45], v[52:53]
	v_fmac_f64_e32 v[88:89], s[8:9], v[56:57]
	v_fmac_f64_e32 v[2:3], s[8:9], v[56:57]
	v_add_f64 v[56:57], v[50:51], v[44:45]
	v_fmac_f64_e32 v[50:51], -0.5, v[66:67]
	v_fma_f64 v[66:67], s[10:11], v[62:63], v[50:51]
	v_fmac_f64_e32 v[50:51], s[4:5], v[62:63]
	v_fmac_f64_e32 v[66:67], s[2:3], v[60:61]
	;; [unrolled: 1-line block ×3, first 2 shown]
	v_add_f64 v[60:61], v[54:55], v[36:37]
	v_add_f64 v[60:61], v[60:61], v[38:39]
	;; [unrolled: 1-line block ×4, first 2 shown]
	v_add_f64 v[68:69], v[46:47], -v[44:45]
	v_add_f64 v[78:79], v[48:49], -v[52:53]
	v_add_f64 v[62:63], v[60:61], v[42:43]
	v_add_f64 v[60:61], v[38:39], v[40:41]
	;; [unrolled: 1-line block ×4, first 2 shown]
	v_fma_f64 v[60:61], -0.5, v[60:61], v[54:55]
	v_add_f64 v[44:45], v[44:45], -v[52:53]
	v_add_f64 v[56:57], v[56:57], v[52:53]
	v_fmac_f64_e32 v[66:67], s[8:9], v[68:69]
	v_fmac_f64_e32 v[50:51], s[8:9], v[68:69]
	v_fma_f64 v[68:69], s[10:11], v[44:45], v[60:61]
	v_add_f64 v[46:47], v[46:47], -v[48:49]
	v_add_f64 v[48:49], v[36:37], -v[38:39]
	;; [unrolled: 1-line block ×3, first 2 shown]
	v_fmac_f64_e32 v[60:61], s[4:5], v[44:45]
	v_fmac_f64_e32 v[68:69], s[12:13], v[46:47]
	v_add_f64 v[48:49], v[48:49], v[52:53]
	v_fmac_f64_e32 v[60:61], s[2:3], v[46:47]
	v_fmac_f64_e32 v[68:69], s[8:9], v[48:49]
	;; [unrolled: 1-line block ×3, first 2 shown]
	v_add_f64 v[48:49], v[36:37], v[42:43]
	v_fmac_f64_e32 v[54:55], -0.5, v[48:49]
	v_mul_f64 v[90:91], v[6:7], s[12:13]
	v_fma_f64 v[78:79], s[4:5], v[46:47], v[54:55]
	v_add_f64 v[36:37], v[38:39], -v[36:37]
	v_add_f64 v[38:39], v[40:41], -v[42:43]
	v_fmac_f64_e32 v[54:55], s[10:11], v[46:47]
	v_fmac_f64_e32 v[90:91], s[18:19], v[10:11]
	;; [unrolled: 1-line block ×3, first 2 shown]
	v_add_f64 v[36:37], v[36:37], v[38:39]
	v_fmac_f64_e32 v[54:55], s[2:3], v[44:45]
	v_add_f64 v[14:15], v[34:35], v[94:95]
	v_add_f64 v[10:11], v[100:101], v[90:91]
	v_add_f64 v[226:227], v[34:35], -v[94:95]
	v_add_f64 v[34:35], v[100:101], -v[90:91]
	v_fmac_f64_e32 v[78:79], s[8:9], v[36:37]
	v_fmac_f64_e32 v[54:55], s[8:9], v[36:37]
	v_mul_f64 v[100:101], v[66:67], s[10:11]
	v_add_f64 v[6:7], v[102:103], v[96:97]
	v_add_f64 v[30:31], v[102:103], -v[96:97]
	v_mul_f64 v[92:93], v[78:79], s[4:5]
	v_mul_f64 v[98:99], v[64:65], s[12:13]
	v_fmac_f64_e32 v[100:101], s[8:9], v[78:79]
	v_mul_f64 v[102:103], v[54:55], s[14:15]
	v_mul_f64 v[78:79], v[60:61], s[16:17]
	;; [unrolled: 1-line block ×3, first 2 shown]
	v_fmac_f64_e32 v[98:99], s[18:19], v[68:69]
	v_fmac_f64_e32 v[102:103], s[10:11], v[50:51]
	;; [unrolled: 1-line block ×5, first 2 shown]
	v_add_f64 v[46:47], v[84:85], v[62:63]
	v_add_f64 v[42:43], v[70:71], v[98:99]
	;; [unrolled: 1-line block ×4, first 2 shown]
	v_add_f64 v[66:67], v[84:85], -v[62:63]
	v_add_f64 v[62:63], v[70:71], -v[98:99]
	;; [unrolled: 1-line block ×4, first 2 shown]
	v_mov_b32_e32 v72, 0x3e8
	v_cndmask_b32_e32 v72, 0, v72, vcc
	v_mul_f64 v[90:91], v[68:69], s[2:3]
	v_mul_f64 v[96:97], v[58:59], s[16:17]
	v_add_lshl_u32 v109, v118, v72, 4
	v_mad_u64_u32 v[84:85], s[6:7], v148, 48, s[6:7]
	v_add_f64 v[44:45], v[74:75], v[56:57]
	v_fmac_f64_e32 v[90:91], s[18:19], v[64:65]
	v_add_f64 v[36:37], v[86:87], v[92:93]
	v_fmac_f64_e32 v[96:97], s[2:3], v[60:61]
	v_add_f64 v[64:65], v[74:75], -v[56:57]
	v_add_f64 v[56:57], v[86:87], -v[92:93]
	ds_write_b128 v109, v[12:15]
	ds_write_b128 v109, v[8:11] offset:1600
	ds_write_b128 v109, v[4:7] offset:3200
	;; [unrolled: 1-line block ×9, first 2 shown]
	v_mad_legacy_u16 v4, v119, s25, v120
	v_add_co_u32_e32 v86, vcc, s21, v84
	v_add_f64 v[40:41], v[82:83], v[90:91]
	v_add_f64 v[52:53], v[0:1], v[94:95]
	;; [unrolled: 1-line block ×4, first 2 shown]
	v_add_f64 v[60:61], v[82:83], -v[90:91]
	v_add_f64 v[68:69], v[0:1], -v[94:95]
	v_add_f64 v[0:1], v[76:77], -v[96:97]
	v_add_f64 v[58:59], v[88:89], -v[100:101]
	v_lshlrev_b32_e32 v106, 4, v4
	s_mov_b64 s[6:7], 0x3de0
	v_addc_co_u32_e32 v87, vcc, 0, v85, vcc
	ds_write_b128 v106, v[44:47]
	ds_write_b128 v106, v[40:43] offset:1600
	ds_write_b128 v106, v[36:39] offset:3200
	ds_write_b128 v106, v[52:55] offset:4800
	ds_write_b128 v106, v[48:51] offset:6400
	ds_write_b128 v106, v[64:67] offset:8000
	ds_write_b128 v106, v[60:63] offset:9600
	ds_write_b128 v106, v[56:59] offset:11200
	ds_write_b128 v106, v[68:71] offset:12800
	ds_write_b128 v106, v[0:3] offset:14400
	s_waitcnt lgkmcnt(0)
	s_barrier
	ds_read_b128 v[16:19], v108
	ds_read_b128 v[76:79], v108 offset:16000
	ds_read_b128 v[72:75], v108 offset:32000
	;; [unrolled: 1-line block ×19, first 2 shown]
	v_lshl_add_u64 v[82:83], v[84:85], 0, s[6:7]
	global_load_dwordx4 v[232:235], v[86:87], off offset:3552
	global_load_dwordx4 v[224:227], v[82:83], off offset:32
	;; [unrolled: 1-line block ×3, first 2 shown]
	v_add_co_u32_e32 v86, vcc, s22, v84
	s_mov_b64 s[6:7], 0x6360
	s_nop 0
	v_addc_co_u32_e32 v87, vcc, 0, v85, vcc
	s_waitcnt vmcnt(2) lgkmcnt(14)
	v_mul_f64 v[82:83], v[78:79], v[234:235]
	v_fma_f64 v[82:83], v[76:77], v[232:233], -v[82:83]
	v_mul_f64 v[76:77], v[76:77], v[234:235]
	v_fmac_f64_e32 v[76:77], v[78:79], v[232:233]
	s_waitcnt vmcnt(0)
	v_mul_f64 v[78:79], v[74:75], v[230:231]
	v_fma_f64 v[78:79], v[72:73], v[228:229], -v[78:79]
	v_mul_f64 v[72:73], v[72:73], v[230:231]
	v_fmac_f64_e32 v[72:73], v[74:75], v[228:229]
	v_mul_f64 v[74:75], v[70:71], v[226:227]
	v_fma_f64 v[74:75], v[68:69], v[224:225], -v[74:75]
	v_mul_f64 v[68:69], v[68:69], v[226:227]
	v_fmac_f64_e32 v[68:69], v[70:71], v[224:225]
	v_lshl_add_u64 v[70:71], v[84:85], 0, s[6:7]
	global_load_dwordx4 v[240:243], v[86:87], off offset:864
	global_load_dwordx4 v[236:239], v[70:71], off offset:32
	;; [unrolled: 1-line block ×3, first 2 shown]
	s_mov_b64 s[6:7], 0x88e0
	s_waitcnt vmcnt(2)
	v_mul_f64 v[70:71], v[66:67], v[242:243]
	v_fma_f64 v[86:87], v[64:65], v[240:241], -v[70:71]
	v_mul_f64 v[88:89], v[64:65], v[242:243]
	s_waitcnt vmcnt(0) lgkmcnt(13)
	v_mul_f64 v[64:65], v[62:63], v[246:247]
	v_fma_f64 v[90:91], v[60:61], v[244:245], -v[64:65]
	v_mul_f64 v[60:61], v[60:61], v[246:247]
	v_fmac_f64_e32 v[60:61], v[62:63], v[244:245]
	s_waitcnt lgkmcnt(12)
	v_mul_f64 v[62:63], v[58:59], v[238:239]
	v_add_co_u32_e32 v64, vcc, s24, v84
	v_fma_f64 v[62:63], v[56:57], v[236:237], -v[62:63]
	v_mul_f64 v[56:57], v[56:57], v[238:239]
	v_addc_co_u32_e32 v65, vcc, 0, v85, vcc
	v_fmac_f64_e32 v[56:57], v[58:59], v[236:237]
	v_lshl_add_u64 v[58:59], v[84:85], 0, s[6:7]
	global_load_dwordx4 v[142:145], v[64:65], off offset:2272
	global_load_dwordx4 v[248:251], v[58:59], off offset:32
	;; [unrolled: 1-line block ×3, first 2 shown]
	s_mov_b64 s[6:7], 0xae60
	v_fmac_f64_e32 v[88:89], v[66:67], v[240:241]
	s_waitcnt vmcnt(2) lgkmcnt(10)
	v_mul_f64 v[58:59], v[54:55], v[144:145]
	v_fma_f64 v[92:93], v[52:53], v[142:143], -v[58:59]
	v_mul_f64 v[94:95], v[52:53], v[144:145]
	s_waitcnt vmcnt(0) lgkmcnt(9)
	v_mul_f64 v[52:53], v[50:51], v[254:255]
	v_fma_f64 v[96:97], v[48:49], v[252:253], -v[52:53]
	v_mul_f64 v[98:99], v[48:49], v[254:255]
	s_waitcnt lgkmcnt(8)
	v_mul_f64 v[48:49], v[46:47], v[250:251]
	v_fma_f64 v[100:101], v[44:45], v[248:249], -v[48:49]
	v_add_co_u32_e32 v48, vcc, s20, v84
	v_mul_f64 v[44:45], v[44:45], v[250:251]
	s_nop 0
	v_addc_co_u32_e32 v49, vcc, 0, v85, vcc
	v_fmac_f64_e32 v[44:45], v[46:47], v[248:249]
	v_lshl_add_u64 v[46:47], v[84:85], 0, s[6:7]
	global_load_dwordx4 v[128:131], v[48:49], off offset:3680
	global_load_dwordx4 v[132:135], v[46:47], off offset:32
	;; [unrolled: 1-line block ×3, first 2 shown]
	s_mov_b64 s[6:7], 0xd3e0
	v_fmac_f64_e32 v[94:95], v[54:55], v[142:143]
	v_fmac_f64_e32 v[98:99], v[50:51], v[252:253]
	s_waitcnt vmcnt(2) lgkmcnt(6)
	v_mul_f64 v[46:47], v[42:43], v[130:131]
	v_fma_f64 v[102:103], v[40:41], v[128:129], -v[46:47]
	v_mul_f64 v[114:115], v[40:41], v[130:131]
	s_waitcnt vmcnt(0) lgkmcnt(5)
	v_mul_f64 v[40:41], v[38:39], v[126:127]
	s_waitcnt lgkmcnt(4)
	v_mul_f64 v[150:151], v[32:33], v[134:135]
	v_fma_f64 v[140:141], v[36:37], v[124:125], -v[40:41]
	v_mul_f64 v[146:147], v[36:37], v[126:127]
	v_mul_f64 v[36:37], v[34:35], v[134:135]
	v_fmac_f64_e32 v[150:151], v[34:35], v[132:133]
	v_add_co_u32_e32 v34, vcc, s23, v84
	v_fma_f64 v[104:105], v[32:33], v[132:133], -v[36:37]
	s_nop 0
	v_addc_co_u32_e32 v35, vcc, 0, v85, vcc
	v_lshl_add_u64 v[32:33], v[84:85], 0, s[6:7]
	global_load_dwordx4 v[110:113], v[34:35], off offset:992
	global_load_dwordx4 v[120:123], v[32:33], off offset:32
	;; [unrolled: 1-line block ×3, first 2 shown]
	v_fmac_f64_e32 v[114:115], v[42:43], v[128:129]
	v_fmac_f64_e32 v[146:147], v[38:39], v[124:125]
	s_mov_b64 s[6:7], 0xfa00
	s_waitcnt vmcnt(2) lgkmcnt(2)
	v_mul_f64 v[32:33], v[30:31], v[112:113]
	v_fma_f64 v[84:85], v[28:29], v[110:111], -v[32:33]
	v_mul_f64 v[138:139], v[28:29], v[112:113]
	s_waitcnt vmcnt(0) lgkmcnt(1)
	v_mul_f64 v[28:29], v[26:27], v[118:119]
	v_fma_f64 v[162:163], v[24:25], v[116:117], -v[28:29]
	v_mul_f64 v[160:161], v[24:25], v[118:119]
	s_waitcnt lgkmcnt(0)
	v_mul_f64 v[24:25], v[22:23], v[122:123]
	v_mul_f64 v[164:165], v[20:21], v[122:123]
	v_fmac_f64_e32 v[160:161], v[26:27], v[116:117]
	v_fma_f64 v[166:167], v[20:21], v[120:121], -v[24:25]
	v_fmac_f64_e32 v[164:165], v[22:23], v[120:121]
	v_add_f64 v[20:21], v[16:17], -v[78:79]
	v_add_f64 v[22:23], v[18:19], -v[72:73]
	;; [unrolled: 1-line block ×4, first 2 shown]
	v_fmac_f64_e32 v[138:139], v[30:31], v[110:111]
	v_fma_f64 v[16:17], v[16:17], 2.0, -v[20:21]
	v_fma_f64 v[18:19], v[18:19], 2.0, -v[22:23]
	v_fma_f64 v[28:29], v[82:83], 2.0, -v[24:25]
	v_fma_f64 v[30:31], v[76:77], 2.0, -v[26:27]
	v_add_f64 v[64:65], v[16:17], -v[28:29]
	v_add_f64 v[66:67], v[18:19], -v[30:31]
	v_add_f64 v[68:69], v[20:21], -v[26:27]
	v_add_f64 v[70:71], v[22:23], v[24:25]
	v_fma_f64 v[76:77], v[16:17], 2.0, -v[64:65]
	v_fma_f64 v[78:79], v[18:19], 2.0, -v[66:67]
	v_fma_f64 v[72:73], v[20:21], 2.0, -v[68:69]
	v_fma_f64 v[74:75], v[22:23], 2.0, -v[70:71]
	v_add_f64 v[16:17], v[12:13], -v[90:91]
	v_add_f64 v[18:19], v[14:15], -v[60:61]
	v_add_f64 v[20:21], v[86:87], -v[62:63]
	v_add_f64 v[22:23], v[88:89], -v[56:57]
	v_fma_f64 v[12:13], v[12:13], 2.0, -v[16:17]
	v_fma_f64 v[14:15], v[14:15], 2.0, -v[18:19]
	v_fma_f64 v[24:25], v[86:87], 2.0, -v[20:21]
	v_fma_f64 v[26:27], v[88:89], 2.0, -v[22:23]
	v_add_f64 v[52:53], v[12:13], -v[24:25]
	v_add_f64 v[54:55], v[14:15], -v[26:27]
	v_add_f64 v[48:49], v[16:17], -v[22:23]
	v_add_f64 v[50:51], v[18:19], v[20:21]
	v_fma_f64 v[60:61], v[12:13], 2.0, -v[52:53]
	v_fma_f64 v[62:63], v[14:15], 2.0, -v[54:55]
	v_fma_f64 v[56:57], v[16:17], 2.0, -v[48:49]
	v_fma_f64 v[58:59], v[18:19], 2.0, -v[50:51]
	v_add_f64 v[12:13], v[8:9], -v[96:97]
	v_add_f64 v[14:15], v[10:11], -v[98:99]
	v_add_f64 v[16:17], v[92:93], -v[100:101]
	v_add_f64 v[18:19], v[94:95], -v[44:45]
	;; [unrolled: 16-line block ×3, first 2 shown]
	v_fma_f64 v[4:5], v[4:5], 2.0, -v[8:9]
	v_fma_f64 v[6:7], v[6:7], 2.0, -v[10:11]
	;; [unrolled: 1-line block ×4, first 2 shown]
	v_add_f64 v[20:21], v[4:5], -v[16:17]
	v_add_f64 v[22:23], v[6:7], -v[18:19]
	;; [unrolled: 1-line block ×3, first 2 shown]
	v_add_f64 v[18:19], v[10:11], v[12:13]
	v_fma_f64 v[24:25], v[8:9], 2.0, -v[16:17]
	v_fma_f64 v[26:27], v[10:11], 2.0, -v[18:19]
	v_add_f64 v[8:9], v[0:1], -v[162:163]
	v_add_f64 v[10:11], v[2:3], -v[160:161]
	;; [unrolled: 1-line block ×4, first 2 shown]
	v_fma_f64 v[28:29], v[4:5], 2.0, -v[20:21]
	v_fma_f64 v[30:31], v[6:7], 2.0, -v[22:23]
	;; [unrolled: 1-line block ×6, first 2 shown]
	v_add_f64 v[4:5], v[0:1], -v[4:5]
	v_add_f64 v[6:7], v[2:3], -v[6:7]
	v_fma_f64 v[12:13], v[0:1], 2.0, -v[4:5]
	v_fma_f64 v[14:15], v[2:3], 2.0, -v[6:7]
	v_add_f64 v[0:1], v[8:9], -v[86:87]
	v_add_f64 v[2:3], v[10:11], v[82:83]
	v_fma_f64 v[8:9], v[8:9], 2.0, -v[0:1]
	v_fma_f64 v[10:11], v[10:11], 2.0, -v[2:3]
	ds_write_b128 v108, v[76:79]
	ds_write_b128 v108, v[72:75] offset:16000
	ds_write_b128 v108, v[64:67] offset:32000
	ds_write_b128 v108, v[68:71] offset:48000
	ds_write_b128 v108, v[60:63] offset:3200
	ds_write_b128 v108, v[56:59] offset:19200
	ds_write_b128 v108, v[52:55] offset:35200
	ds_write_b128 v108, v[48:51] offset:51200
	ds_write_b128 v108, v[44:47] offset:6400
	ds_write_b128 v108, v[40:43] offset:22400
	ds_write_b128 v108, v[36:39] offset:38400
	ds_write_b128 v108, v[32:35] offset:54400
	ds_write_b128 v108, v[28:31] offset:9600
	ds_write_b128 v108, v[24:27] offset:25600
	ds_write_b128 v108, v[20:23] offset:41600
	ds_write_b128 v108, v[16:19] offset:57600
	ds_write_b128 v108, v[12:15] offset:12800
	ds_write_b128 v108, v[8:11] offset:28800
	ds_write_b128 v108, v[4:7] offset:44800
	ds_write_b128 v108, v[0:3] offset:60800
	v_lshl_add_u64 v[4:5], v[80:81], 0, s[6:7]
	s_mov_b32 s6, 0xf000
	v_add_co_u32_e32 v6, vcc, s6, v80
	s_waitcnt lgkmcnt(0)
	s_nop 0
	v_addc_co_u32_e32 v7, vcc, 0, v81, vcc
	s_barrier
	global_load_dwordx4 v[6:9], v[6:7], off offset:2560
	ds_read_b128 v[0:3], v108
	s_mov_b32 s6, 0x11000
	s_waitcnt vmcnt(0) lgkmcnt(0)
	v_mul_f64 v[10:11], v[2:3], v[8:9]
	v_mul_f64 v[12:13], v[0:1], v[8:9]
	v_fma_f64 v[10:11], v[0:1], v[6:7], -v[10:11]
	v_fmac_f64_e32 v[12:13], v[2:3], v[6:7]
	v_add_co_u32_e32 v6, vcc, s6, v80
	ds_write_b128 v108, v[10:13]
	s_nop 0
	v_addc_co_u32_e32 v7, vcc, 0, v81, vcc
	global_load_dwordx4 v[8:11], v[6:7], off offset:768
	ds_read_b128 v[0:3], v108 offset:6400
	s_mov_b32 s6, 0x12000
	s_waitcnt vmcnt(0) lgkmcnt(0)
	v_mul_f64 v[12:13], v[2:3], v[10:11]
	v_mul_f64 v[14:15], v[0:1], v[10:11]
	v_fma_f64 v[12:13], v[0:1], v[8:9], -v[12:13]
	v_fmac_f64_e32 v[14:15], v[2:3], v[8:9]
	v_add_co_u32_e32 v8, vcc, s6, v80
	ds_read_b128 v[0:3], v108 offset:12800
	s_nop 0
	v_addc_co_u32_e32 v9, vcc, 0, v81, vcc
	global_load_dwordx4 v[8:11], v[8:9], off offset:3072
	ds_write_b128 v108, v[12:15] offset:6400
	s_mov_b32 s6, 0x14000
	s_waitcnt vmcnt(0) lgkmcnt(1)
	v_mul_f64 v[12:13], v[2:3], v[10:11]
	v_mul_f64 v[14:15], v[0:1], v[10:11]
	v_fma_f64 v[12:13], v[0:1], v[8:9], -v[12:13]
	v_fmac_f64_e32 v[14:15], v[2:3], v[8:9]
	v_add_co_u32_e32 v8, vcc, s6, v80
	ds_read_b128 v[0:3], v108 offset:19200
	s_nop 0
	v_addc_co_u32_e32 v9, vcc, 0, v81, vcc
	global_load_dwordx4 v[8:11], v[8:9], off offset:1280
	ds_write_b128 v108, v[12:15] offset:12800
	s_mov_b32 s6, 0x15000
	s_waitcnt vmcnt(0) lgkmcnt(1)
	v_mul_f64 v[12:13], v[2:3], v[10:11]
	v_mul_f64 v[14:15], v[0:1], v[10:11]
	v_fma_f64 v[12:13], v[0:1], v[8:9], -v[12:13]
	v_fmac_f64_e32 v[14:15], v[2:3], v[8:9]
	ds_write_b128 v108, v[12:15] offset:19200
	v_add_co_u32_e32 v12, vcc, s6, v80
	ds_read_b128 v[0:3], v108 offset:25600
	s_nop 0
	v_addc_co_u32_e32 v13, vcc, 0, v81, vcc
	global_load_dwordx4 v[8:11], v[12:13], off offset:3584
	s_mov_b32 s6, 0x17000
	s_waitcnt vmcnt(0) lgkmcnt(0)
	v_mul_f64 v[14:15], v[2:3], v[10:11]
	v_mul_f64 v[16:17], v[0:1], v[10:11]
	v_fma_f64 v[14:15], v[0:1], v[8:9], -v[14:15]
	v_fmac_f64_e32 v[16:17], v[2:3], v[8:9]
	v_add_co_u32_e32 v8, vcc, s6, v80
	ds_read_b128 v[0:3], v108 offset:32000
	s_nop 0
	v_addc_co_u32_e32 v9, vcc, 0, v81, vcc
	global_load_dwordx4 v[8:11], v[8:9], off offset:1792
	ds_write_b128 v108, v[14:17] offset:25600
	s_mov_b32 s6, 0x19000
	s_waitcnt vmcnt(0) lgkmcnt(1)
	v_mul_f64 v[14:15], v[2:3], v[10:11]
	v_mul_f64 v[16:17], v[0:1], v[10:11]
	v_fma_f64 v[14:15], v[0:1], v[8:9], -v[14:15]
	v_fmac_f64_e32 v[16:17], v[2:3], v[8:9]
	v_add_co_u32_e32 v8, vcc, s6, v80
	ds_write_b128 v108, v[14:17] offset:32000
	s_nop 0
	v_addc_co_u32_e32 v9, vcc, 0, v81, vcc
	global_load_dwordx4 v[14:17], v[8:9], off
	ds_read_b128 v[0:3], v108 offset:38400
	s_mov_b32 s6, 0x1a000
	s_waitcnt vmcnt(0) lgkmcnt(0)
	v_mul_f64 v[10:11], v[2:3], v[16:17]
	v_fma_f64 v[18:19], v[0:1], v[14:15], -v[10:11]
	v_add_co_u32_e32 v10, vcc, s6, v80
	v_mul_f64 v[20:21], v[0:1], v[16:17]
	s_nop 0
	v_addc_co_u32_e32 v11, vcc, 0, v81, vcc
	v_fmac_f64_e32 v[20:21], v[2:3], v[14:15]
	global_load_dwordx4 v[14:17], v[10:11], off offset:2304
	ds_read_b128 v[0:3], v108 offset:44800
	s_mov_b32 s6, 0x1c000
	ds_write_b128 v108, v[18:21] offset:38400
	s_waitcnt vmcnt(0) lgkmcnt(1)
	v_mul_f64 v[10:11], v[2:3], v[16:17]
	v_fma_f64 v[18:19], v[0:1], v[14:15], -v[10:11]
	v_add_co_u32_e32 v10, vcc, s6, v80
	v_mul_f64 v[20:21], v[0:1], v[16:17]
	s_nop 0
	v_addc_co_u32_e32 v11, vcc, 0, v81, vcc
	v_fmac_f64_e32 v[20:21], v[2:3], v[14:15]
	global_load_dwordx4 v[14:17], v[10:11], off offset:512
	ds_read_b128 v[0:3], v108 offset:51200
	ds_write_b128 v108, v[18:21] offset:44800
	s_mov_b32 s6, 0x1d000
	s_waitcnt vmcnt(0) lgkmcnt(1)
	v_mul_f64 v[18:19], v[2:3], v[16:17]
	v_mul_f64 v[20:21], v[0:1], v[16:17]
	v_fma_f64 v[18:19], v[0:1], v[14:15], -v[18:19]
	v_fmac_f64_e32 v[20:21], v[2:3], v[14:15]
	v_add_co_u32_e32 v14, vcc, s6, v80
	ds_read_b128 v[0:3], v108 offset:57600
	s_nop 0
	v_addc_co_u32_e32 v15, vcc, 0, v81, vcc
	global_load_dwordx4 v[14:17], v[14:15], off offset:2816
	ds_write_b128 v108, v[18:21] offset:51200
	s_mov_b32 s6, 0x13000
	s_waitcnt vmcnt(0) lgkmcnt(1)
	v_mul_f64 v[18:19], v[2:3], v[16:17]
	v_mul_f64 v[20:21], v[0:1], v[16:17]
	v_fma_f64 v[18:19], v[0:1], v[14:15], -v[18:19]
	v_fmac_f64_e32 v[20:21], v[2:3], v[14:15]
	global_load_dwordx4 v[14:17], v[4:5], off offset:3200
	ds_read_b128 v[0:3], v108 offset:3200
	ds_write_b128 v108, v[18:21] offset:57600
	s_waitcnt vmcnt(0) lgkmcnt(1)
	v_mul_f64 v[4:5], v[2:3], v[16:17]
	v_fma_f64 v[18:19], v[0:1], v[14:15], -v[4:5]
	global_load_dwordx4 v[4:7], v[6:7], off offset:3968
	v_mul_f64 v[20:21], v[0:1], v[16:17]
	v_fmac_f64_e32 v[20:21], v[2:3], v[14:15]
	ds_read_b128 v[0:3], v108 offset:9600
	ds_write_b128 v108, v[18:21] offset:3200
	s_waitcnt vmcnt(0) lgkmcnt(1)
	v_mul_f64 v[14:15], v[2:3], v[6:7]
	v_mul_f64 v[16:17], v[0:1], v[6:7]
	v_fma_f64 v[14:15], v[0:1], v[4:5], -v[14:15]
	v_fmac_f64_e32 v[16:17], v[2:3], v[4:5]
	v_add_co_u32_e32 v4, vcc, s6, v80
	ds_read_b128 v[0:3], v108 offset:16000
	s_nop 0
	v_addc_co_u32_e32 v5, vcc, 0, v81, vcc
	global_load_dwordx4 v[4:7], v[4:5], off offset:2176
	ds_write_b128 v108, v[14:17] offset:9600
	s_mov_b32 s6, 0x16000
	s_waitcnt vmcnt(0) lgkmcnt(1)
	v_mul_f64 v[14:15], v[2:3], v[6:7]
	v_mul_f64 v[16:17], v[0:1], v[6:7]
	v_fma_f64 v[14:15], v[0:1], v[4:5], -v[14:15]
	v_fmac_f64_e32 v[16:17], v[2:3], v[4:5]
	global_load_dwordx4 v[4:7], v[12:13], off offset:384
	ds_read_b128 v[0:3], v108 offset:22400
	ds_write_b128 v108, v[14:17] offset:16000
	s_waitcnt vmcnt(0) lgkmcnt(1)
	v_mul_f64 v[12:13], v[2:3], v[6:7]
	v_mul_f64 v[14:15], v[0:1], v[6:7]
	v_fma_f64 v[12:13], v[0:1], v[4:5], -v[12:13]
	v_fmac_f64_e32 v[14:15], v[2:3], v[4:5]
	v_add_co_u32_e32 v4, vcc, s6, v80
	ds_read_b128 v[0:3], v108 offset:28800
	s_nop 0
	v_addc_co_u32_e32 v5, vcc, 0, v81, vcc
	global_load_dwordx4 v[4:7], v[4:5], off offset:2688
	ds_write_b128 v108, v[12:15] offset:22400
	s_mov_b32 s6, 0x18000
	s_waitcnt vmcnt(0) lgkmcnt(1)
	v_mul_f64 v[12:13], v[2:3], v[6:7]
	v_mul_f64 v[14:15], v[0:1], v[6:7]
	v_fma_f64 v[12:13], v[0:1], v[4:5], -v[12:13]
	v_fmac_f64_e32 v[14:15], v[2:3], v[4:5]
	v_add_co_u32_e32 v4, vcc, s6, v80
	ds_read_b128 v[0:3], v108 offset:35200
	s_nop 0
	v_addc_co_u32_e32 v5, vcc, 0, v81, vcc
	global_load_dwordx4 v[4:7], v[4:5], off offset:896
	ds_write_b128 v108, v[12:15] offset:28800
	s_mov_b32 s6, 0x1b000
	s_waitcnt vmcnt(0) lgkmcnt(1)
	v_mul_f64 v[12:13], v[2:3], v[6:7]
	v_mul_f64 v[14:15], v[0:1], v[6:7]
	v_fma_f64 v[12:13], v[0:1], v[4:5], -v[12:13]
	v_fmac_f64_e32 v[14:15], v[2:3], v[4:5]
	global_load_dwordx4 v[4:7], v[8:9], off offset:3200
	ds_read_b128 v[0:3], v108 offset:41600
	ds_write_b128 v108, v[12:15] offset:35200
	s_waitcnt vmcnt(0) lgkmcnt(1)
	v_mul_f64 v[8:9], v[2:3], v[6:7]
	v_mul_f64 v[14:15], v[0:1], v[6:7]
	v_fma_f64 v[12:13], v[0:1], v[4:5], -v[8:9]
	v_fmac_f64_e32 v[14:15], v[2:3], v[4:5]
	v_add_co_u32_e32 v4, vcc, s6, v80
	ds_read_b128 v[0:3], v108 offset:48000
	s_nop 0
	v_addc_co_u32_e32 v5, vcc, 0, v81, vcc
	global_load_dwordx4 v[4:7], v[4:5], off offset:1408
	ds_write_b128 v108, v[12:15] offset:41600
	s_mov_b32 s6, 0x1e000
	s_waitcnt vmcnt(0) lgkmcnt(1)
	v_mul_f64 v[8:9], v[2:3], v[6:7]
	v_mul_f64 v[14:15], v[0:1], v[6:7]
	v_fma_f64 v[12:13], v[0:1], v[4:5], -v[8:9]
	v_fmac_f64_e32 v[14:15], v[2:3], v[4:5]
	global_load_dwordx4 v[4:7], v[10:11], off offset:3712
	ds_read_b128 v[0:3], v108 offset:54400
	ds_write_b128 v108, v[12:15] offset:48000
	s_waitcnt vmcnt(0) lgkmcnt(1)
	v_mul_f64 v[8:9], v[2:3], v[6:7]
	v_mul_f64 v[10:11], v[0:1], v[6:7]
	v_fma_f64 v[8:9], v[0:1], v[4:5], -v[8:9]
	v_fmac_f64_e32 v[10:11], v[2:3], v[4:5]
	v_add_co_u32_e32 v4, vcc, s6, v80
	ds_read_b128 v[0:3], v108 offset:60800
	s_nop 0
	v_addc_co_u32_e32 v5, vcc, 0, v81, vcc
	global_load_dwordx4 v[4:7], v[4:5], off offset:1920
	ds_write_b128 v108, v[8:11] offset:54400
	s_waitcnt vmcnt(0) lgkmcnt(1)
	v_mul_f64 v[8:9], v[2:3], v[6:7]
	v_mul_f64 v[10:11], v[0:1], v[6:7]
	v_fma_f64 v[8:9], v[0:1], v[4:5], -v[8:9]
	v_fmac_f64_e32 v[10:11], v[2:3], v[4:5]
	ds_write_b128 v108, v[8:11] offset:60800
	s_waitcnt lgkmcnt(0)
	s_barrier
	ds_read_b128 v[24:27], v108
	ds_read_b128 v[44:47], v108 offset:6400
	ds_read_b128 v[28:31], v108 offset:12800
	;; [unrolled: 1-line block ×19, first 2 shown]
	s_waitcnt lgkmcnt(14)
	v_add_f64 v[68:69], v[24:25], v[28:29]
	v_add_f64 v[68:69], v[68:69], v[84:85]
	s_waitcnt lgkmcnt(13)
	v_add_f64 v[68:69], v[68:69], v[88:89]
	s_waitcnt lgkmcnt(11)
	v_add_f64 v[70:71], v[68:69], v[92:93]
	v_add_f64 v[68:69], v[84:85], v[88:89]
	v_fma_f64 v[80:81], -0.5, v[68:69], v[24:25]
	v_add_f64 v[68:69], v[30:31], -v[94:95]
	v_fma_f64 v[76:77], s[10:11], v[68:69], v[80:81]
	v_add_f64 v[72:73], v[86:87], -v[90:91]
	v_add_f64 v[74:75], v[28:29], -v[84:85]
	;; [unrolled: 1-line block ×3, first 2 shown]
	v_fmac_f64_e32 v[80:81], s[4:5], v[68:69]
	v_fmac_f64_e32 v[76:77], s[12:13], v[72:73]
	v_add_f64 v[74:75], v[74:75], v[78:79]
	v_fmac_f64_e32 v[80:81], s[2:3], v[72:73]
	v_fmac_f64_e32 v[76:77], s[8:9], v[74:75]
	;; [unrolled: 1-line block ×3, first 2 shown]
	v_add_f64 v[74:75], v[28:29], v[92:93]
	v_fmac_f64_e32 v[24:25], -0.5, v[74:75]
	v_fma_f64 v[74:75], s[4:5], v[72:73], v[24:25]
	v_fmac_f64_e32 v[24:25], s[10:11], v[72:73]
	v_fmac_f64_e32 v[74:75], s[12:13], v[68:69]
	;; [unrolled: 1-line block ×3, first 2 shown]
	v_add_f64 v[68:69], v[26:27], v[30:31]
	v_add_f64 v[68:69], v[68:69], v[86:87]
	v_add_f64 v[78:79], v[84:85], -v[28:29]
	v_add_f64 v[82:83], v[88:89], -v[92:93]
	v_add_f64 v[68:69], v[68:69], v[90:91]
	v_add_f64 v[78:79], v[78:79], v[82:83]
	;; [unrolled: 1-line block ×4, first 2 shown]
	v_fma_f64 v[114:115], -0.5, v[68:69], v[26:27]
	v_add_f64 v[68:69], v[28:29], -v[92:93]
	v_fmac_f64_e32 v[74:75], s[8:9], v[78:79]
	v_fmac_f64_e32 v[24:25], s[8:9], v[78:79]
	v_fma_f64 v[78:79], s[4:5], v[68:69], v[114:115]
	v_add_f64 v[72:73], v[84:85], -v[88:89]
	v_add_f64 v[28:29], v[30:31], -v[86:87]
	;; [unrolled: 1-line block ×3, first 2 shown]
	v_fmac_f64_e32 v[114:115], s[10:11], v[68:69]
	v_fmac_f64_e32 v[78:79], s[2:3], v[72:73]
	v_add_f64 v[28:29], v[28:29], v[84:85]
	v_fmac_f64_e32 v[114:115], s[12:13], v[72:73]
	v_fmac_f64_e32 v[78:79], s[8:9], v[28:29]
	;; [unrolled: 1-line block ×3, first 2 shown]
	v_add_f64 v[28:29], v[30:31], v[94:95]
	v_fmac_f64_e32 v[26:27], -0.5, v[28:29]
	v_fma_f64 v[28:29], s[10:11], v[72:73], v[26:27]
	v_add_f64 v[30:31], v[86:87], -v[30:31]
	v_add_f64 v[84:85], v[90:91], -v[94:95]
	v_fmac_f64_e32 v[26:27], s[4:5], v[72:73]
	v_fmac_f64_e32 v[28:29], s[2:3], v[68:69]
	v_add_f64 v[30:31], v[30:31], v[84:85]
	v_fmac_f64_e32 v[26:27], s[12:13], v[68:69]
	v_fmac_f64_e32 v[28:29], s[8:9], v[30:31]
	;; [unrolled: 1-line block ×3, first 2 shown]
	v_add_f64 v[30:31], v[44:45], v[48:49]
	v_add_f64 v[30:31], v[30:31], v[52:53]
	;; [unrolled: 1-line block ×3, first 2 shown]
	s_waitcnt lgkmcnt(10)
	v_add_f64 v[68:69], v[30:31], v[60:61]
	v_add_f64 v[30:31], v[52:53], v[56:57]
	v_fma_f64 v[72:73], -0.5, v[30:31], v[44:45]
	v_add_f64 v[30:31], v[50:51], -v[62:63]
	v_fma_f64 v[86:87], s[10:11], v[30:31], v[72:73]
	v_add_f64 v[84:85], v[54:55], -v[58:59]
	v_add_f64 v[88:89], v[48:49], -v[52:53]
	;; [unrolled: 1-line block ×3, first 2 shown]
	v_fmac_f64_e32 v[72:73], s[4:5], v[30:31]
	v_fmac_f64_e32 v[86:87], s[12:13], v[84:85]
	v_add_f64 v[88:89], v[88:89], v[90:91]
	v_fmac_f64_e32 v[72:73], s[2:3], v[84:85]
	v_fmac_f64_e32 v[86:87], s[8:9], v[88:89]
	;; [unrolled: 1-line block ×3, first 2 shown]
	v_add_f64 v[88:89], v[48:49], v[60:61]
	v_fmac_f64_e32 v[44:45], -0.5, v[88:89]
	v_fma_f64 v[102:103], s[4:5], v[84:85], v[44:45]
	v_add_f64 v[88:89], v[52:53], -v[48:49]
	v_add_f64 v[90:91], v[56:57], -v[60:61]
	v_fmac_f64_e32 v[44:45], s[10:11], v[84:85]
	v_add_f64 v[84:85], v[54:55], v[58:59]
	v_add_f64 v[88:89], v[88:89], v[90:91]
	v_fma_f64 v[90:91], -0.5, v[84:85], v[46:47]
	v_add_f64 v[48:49], v[48:49], -v[60:61]
	v_fma_f64 v[60:61], s[4:5], v[48:49], v[90:91]
	v_add_f64 v[52:53], v[52:53], -v[56:57]
	v_add_f64 v[56:57], v[50:51], -v[54:55]
	;; [unrolled: 1-line block ×3, first 2 shown]
	v_fmac_f64_e32 v[90:91], s[10:11], v[48:49]
	v_fmac_f64_e32 v[60:61], s[2:3], v[52:53]
	v_add_f64 v[56:57], v[56:57], v[84:85]
	v_fmac_f64_e32 v[90:91], s[12:13], v[52:53]
	v_fmac_f64_e32 v[60:61], s[8:9], v[56:57]
	;; [unrolled: 1-line block ×3, first 2 shown]
	v_add_f64 v[56:57], v[50:51], v[62:63]
	v_fmac_f64_e32 v[102:103], s[12:13], v[30:31]
	v_fmac_f64_e32 v[44:45], s[2:3], v[30:31]
	v_add_f64 v[30:31], v[46:47], v[50:51]
	v_fmac_f64_e32 v[46:47], -0.5, v[56:57]
	v_add_f64 v[30:31], v[30:31], v[54:55]
	v_fma_f64 v[56:57], s[10:11], v[52:53], v[46:47]
	v_add_f64 v[50:51], v[54:55], -v[50:51]
	v_add_f64 v[54:55], v[58:59], -v[62:63]
	v_fmac_f64_e32 v[46:47], s[4:5], v[52:53]
	v_add_f64 v[50:51], v[50:51], v[54:55]
	v_fmac_f64_e32 v[46:47], s[12:13], v[48:49]
	v_fmac_f64_e32 v[46:47], s[8:9], v[50:51]
	v_fmac_f64_e32 v[44:45], s[8:9], v[88:89]
	v_mul_f64 v[54:55], v[46:47], s[10:11]
	v_fmac_f64_e32 v[54:55], s[14:15], v[44:45]
	v_mul_f64 v[46:47], v[46:47], s[14:15]
	v_add_f64 v[84:85], v[24:25], v[54:55]
	v_fmac_f64_e32 v[46:47], s[4:5], v[44:45]
	v_add_f64 v[44:45], v[24:25], -v[54:55]
	s_waitcnt lgkmcnt(7)
	v_add_f64 v[24:25], v[4:5], v[20:21]
	v_fmac_f64_e32 v[56:57], s[2:3], v[48:49]
	v_mul_f64 v[48:49], v[60:61], s[12:13]
	s_waitcnt lgkmcnt(5)
	v_add_f64 v[24:25], v[24:25], v[16:17]
	v_add_f64 v[30:31], v[30:31], v[58:59]
	v_fmac_f64_e32 v[56:57], s[8:9], v[50:51]
	v_fmac_f64_e32 v[48:49], s[18:19], v[86:87]
	s_waitcnt lgkmcnt(3)
	v_add_f64 v[24:25], v[24:25], v[12:13]
	v_fmac_f64_e32 v[102:103], s[8:9], v[88:89]
	v_add_f64 v[30:31], v[30:31], v[62:63]
	v_add_f64 v[96:97], v[76:77], v[48:49]
	v_mul_f64 v[50:51], v[56:57], s[10:11]
	v_mul_f64 v[58:59], v[90:91], s[12:13]
	v_mul_f64 v[62:63], v[86:87], s[2:3]
	v_mul_f64 v[104:105], v[56:57], s[8:9]
	v_add_f64 v[56:57], v[76:77], -v[48:49]
	s_waitcnt lgkmcnt(1)
	v_add_f64 v[76:77], v[24:25], v[8:9]
	v_add_f64 v[24:25], v[16:17], v[12:13]
	;; [unrolled: 1-line block ×3, first 2 shown]
	v_fmac_f64_e32 v[58:59], s[16:17], v[72:73]
	v_fmac_f64_e32 v[62:63], s[18:19], v[60:61]
	v_fmac_f64_e32 v[104:105], s[4:5], v[102:103]
	v_add_f64 v[52:53], v[70:71], -v[68:69]
	v_fma_f64 v[68:69], -0.5, v[24:25], v[4:5]
	v_add_f64 v[24:25], v[22:23], -v[10:11]
	v_fmac_f64_e32 v[50:51], s[8:9], v[102:103]
	v_add_f64 v[88:89], v[80:81], v[58:59]
	v_add_f64 v[94:95], v[82:83], v[30:31]
	;; [unrolled: 1-line block ×5, first 2 shown]
	v_add_f64 v[48:49], v[80:81], -v[58:59]
	v_add_f64 v[54:55], v[82:83], -v[30:31]
	;; [unrolled: 1-line block ×5, first 2 shown]
	v_fma_f64 v[78:79], s[10:11], v[24:25], v[68:69]
	v_add_f64 v[26:27], v[18:19], -v[14:15]
	v_add_f64 v[28:29], v[20:21], -v[16:17]
	;; [unrolled: 1-line block ×3, first 2 shown]
	v_fmac_f64_e32 v[68:69], s[4:5], v[24:25]
	v_fmac_f64_e32 v[78:79], s[12:13], v[26:27]
	v_add_f64 v[28:29], v[28:29], v[30:31]
	v_fmac_f64_e32 v[68:69], s[2:3], v[26:27]
	v_mul_f64 v[138:139], v[90:91], s[16:17]
	v_fmac_f64_e32 v[78:79], s[8:9], v[28:29]
	v_fmac_f64_e32 v[68:69], s[8:9], v[28:29]
	v_add_f64 v[28:29], v[20:21], v[8:9]
	v_fmac_f64_e32 v[138:139], s[2:3], v[72:73]
	v_fmac_f64_e32 v[4:5], -0.5, v[28:29]
	v_add_f64 v[100:101], v[74:75], v[50:51]
	v_add_f64 v[90:91], v[114:115], v[138:139]
	v_add_f64 v[60:61], v[74:75], -v[50:51]
	v_add_f64 v[50:51], v[114:115], -v[138:139]
	v_fma_f64 v[114:115], s[4:5], v[26:27], v[4:5]
	v_fmac_f64_e32 v[4:5], s[10:11], v[26:27]
	v_fmac_f64_e32 v[114:115], s[12:13], v[24:25]
	;; [unrolled: 1-line block ×3, first 2 shown]
	v_add_f64 v[24:25], v[6:7], v[22:23]
	v_add_f64 v[24:25], v[24:25], v[18:19]
	v_add_f64 v[24:25], v[24:25], v[14:15]
	v_add_f64 v[72:73], v[24:25], v[10:11]
	v_add_f64 v[24:25], v[18:19], v[14:15]
	v_add_f64 v[30:31], v[12:13], -v[8:9]
	v_fma_f64 v[70:71], -0.5, v[24:25], v[6:7]
	v_add_f64 v[8:9], v[20:21], -v[8:9]
	v_add_f64 v[28:29], v[16:17], -v[20:21]
	v_fma_f64 v[74:75], s[4:5], v[8:9], v[70:71]
	v_add_f64 v[12:13], v[16:17], -v[12:13]
	v_add_f64 v[16:17], v[22:23], -v[18:19]
	;; [unrolled: 1-line block ×3, first 2 shown]
	v_fmac_f64_e32 v[70:71], s[10:11], v[8:9]
	v_fmac_f64_e32 v[74:75], s[2:3], v[12:13]
	v_add_f64 v[16:17], v[16:17], v[20:21]
	v_fmac_f64_e32 v[70:71], s[12:13], v[12:13]
	v_fmac_f64_e32 v[74:75], s[8:9], v[16:17]
	;; [unrolled: 1-line block ×3, first 2 shown]
	v_add_f64 v[16:17], v[22:23], v[10:11]
	v_fmac_f64_e32 v[6:7], -0.5, v[16:17]
	v_fma_f64 v[80:81], s[10:11], v[12:13], v[6:7]
	v_fmac_f64_e32 v[6:7], s[4:5], v[12:13]
	v_fmac_f64_e32 v[80:81], s[2:3], v[8:9]
	;; [unrolled: 1-line block ×3, first 2 shown]
	v_add_f64 v[8:9], v[0:1], v[40:41]
	v_add_f64 v[8:9], v[8:9], v[36:37]
	;; [unrolled: 1-line block ×3, first 2 shown]
	v_add_f64 v[16:17], v[18:19], -v[22:23]
	v_add_f64 v[10:11], v[14:15], -v[10:11]
	s_waitcnt lgkmcnt(0)
	v_add_f64 v[24:25], v[8:9], v[64:65]
	v_add_f64 v[8:9], v[36:37], v[32:33]
	;; [unrolled: 1-line block ×3, first 2 shown]
	v_fma_f64 v[22:23], -0.5, v[8:9], v[0:1]
	v_add_f64 v[8:9], v[42:43], -v[66:67]
	v_fmac_f64_e32 v[80:81], s[8:9], v[10:11]
	v_fmac_f64_e32 v[6:7], s[8:9], v[10:11]
	v_fma_f64 v[10:11], s[10:11], v[8:9], v[22:23]
	v_add_f64 v[12:13], v[38:39], -v[34:35]
	v_add_f64 v[14:15], v[40:41], -v[36:37]
	;; [unrolled: 1-line block ×3, first 2 shown]
	v_fmac_f64_e32 v[22:23], s[4:5], v[8:9]
	v_fmac_f64_e32 v[10:11], s[12:13], v[12:13]
	v_add_f64 v[14:15], v[14:15], v[16:17]
	v_fmac_f64_e32 v[22:23], s[2:3], v[12:13]
	v_fmac_f64_e32 v[10:11], s[8:9], v[14:15]
	;; [unrolled: 1-line block ×3, first 2 shown]
	v_add_f64 v[14:15], v[40:41], v[64:65]
	v_fmac_f64_e32 v[0:1], -0.5, v[14:15]
	v_add_f64 v[28:29], v[28:29], v[30:31]
	v_fma_f64 v[30:31], s[4:5], v[12:13], v[0:1]
	v_fmac_f64_e32 v[0:1], s[10:11], v[12:13]
	v_fmac_f64_e32 v[30:31], s[12:13], v[8:9]
	;; [unrolled: 1-line block ×3, first 2 shown]
	v_add_f64 v[8:9], v[2:3], v[42:43]
	v_add_f64 v[8:9], v[8:9], v[38:39]
	;; [unrolled: 1-line block ×3, first 2 shown]
	v_add_f64 v[14:15], v[36:37], -v[40:41]
	v_add_f64 v[16:17], v[32:33], -v[64:65]
	v_add_f64 v[26:27], v[8:9], v[66:67]
	v_add_f64 v[8:9], v[38:39], v[34:35]
	;; [unrolled: 1-line block ×3, first 2 shown]
	v_fma_f64 v[82:83], -0.5, v[8:9], v[2:3]
	v_add_f64 v[8:9], v[40:41], -v[64:65]
	v_fmac_f64_e32 v[30:31], s[8:9], v[14:15]
	v_fmac_f64_e32 v[0:1], s[8:9], v[14:15]
	v_fma_f64 v[14:15], s[4:5], v[8:9], v[82:83]
	v_add_f64 v[12:13], v[36:37], -v[32:33]
	v_add_f64 v[16:17], v[42:43], -v[38:39]
	;; [unrolled: 1-line block ×3, first 2 shown]
	v_fmac_f64_e32 v[82:83], s[10:11], v[8:9]
	v_fmac_f64_e32 v[14:15], s[2:3], v[12:13]
	v_add_f64 v[16:17], v[16:17], v[18:19]
	v_fmac_f64_e32 v[82:83], s[12:13], v[12:13]
	v_fmac_f64_e32 v[14:15], s[8:9], v[16:17]
	;; [unrolled: 1-line block ×3, first 2 shown]
	v_add_f64 v[16:17], v[42:43], v[66:67]
	v_fmac_f64_e32 v[2:3], -0.5, v[16:17]
	v_fma_f64 v[32:33], s[10:11], v[12:13], v[2:3]
	v_add_f64 v[16:17], v[38:39], -v[42:43]
	v_add_f64 v[18:19], v[34:35], -v[66:67]
	v_fmac_f64_e32 v[2:3], s[4:5], v[12:13]
	v_fmac_f64_e32 v[32:33], s[2:3], v[8:9]
	v_add_f64 v[16:17], v[16:17], v[18:19]
	v_fmac_f64_e32 v[2:3], s[12:13], v[8:9]
	v_fmac_f64_e32 v[32:33], s[8:9], v[16:17]
	;; [unrolled: 1-line block ×3, first 2 shown]
	v_mul_f64 v[34:35], v[14:15], s[12:13]
	v_mul_f64 v[38:39], v[32:33], s[10:11]
	;; [unrolled: 1-line block ×8, first 2 shown]
	v_fmac_f64_e32 v[114:115], s[8:9], v[28:29]
	v_fmac_f64_e32 v[4:5], s[8:9], v[28:29]
	;; [unrolled: 1-line block ×10, first 2 shown]
	v_add_f64 v[16:17], v[76:77], v[24:25]
	v_add_f64 v[12:13], v[78:79], v[34:35]
	;; [unrolled: 1-line block ×10, first 2 shown]
	v_add_f64 v[36:37], v[76:77], -v[24:25]
	v_add_f64 v[32:33], v[78:79], -v[34:35]
	;; [unrolled: 1-line block ×10, first 2 shown]
	s_barrier
	ds_write_b128 v149, v[92:95]
	ds_write_b128 v149, v[96:99] offset:16
	ds_write_b128 v149, v[100:103] offset:32
	ds_write_b128 v149, v[84:87] offset:48
	ds_write_b128 v149, v[88:91] offset:64
	ds_write_b128 v149, v[52:55] offset:80
	ds_write_b128 v149, v[56:59] offset:96
	ds_write_b128 v149, v[60:63] offset:112
	ds_write_b128 v149, v[44:47] offset:128
	ds_write_b128 v149, v[48:51] offset:144
	ds_write_b128 v168, v[16:19]
	ds_write_b128 v168, v[12:15] offset:16
	ds_write_b128 v168, v[8:11] offset:32
	;; [unrolled: 1-line block ×9, first 2 shown]
	v_accvgpr_read_b32 v82, a94
	v_accvgpr_read_b32 v84, a96
	;; [unrolled: 1-line block ×3, first 2 shown]
	s_waitcnt lgkmcnt(0)
	s_barrier
	ds_read_b128 v[24:27], v108
	ds_read_b128 v[64:67], v108 offset:6400
	ds_read_b128 v[68:71], v108 offset:12800
	;; [unrolled: 1-line block ×19, first 2 shown]
	v_accvgpr_read_b32 v83, a95
	s_waitcnt lgkmcnt(14)
	v_mul_f64 v[80:81], v[84:85], v[66:67]
	v_fmac_f64_e32 v[80:81], v[82:83], v[64:65]
	v_mul_f64 v[64:65], v[84:85], v[64:65]
	v_accvgpr_read_b32 v84, a90
	v_accvgpr_read_b32 v86, a92
	;; [unrolled: 1-line block ×4, first 2 shown]
	v_mul_f64 v[96:97], v[86:87], v[70:71]
	v_fma_f64 v[82:83], v[82:83], v[66:67], -v[64:65]
	v_fmac_f64_e32 v[96:97], v[84:85], v[68:69]
	v_mul_f64 v[64:65], v[86:87], v[68:69]
	v_accvgpr_read_b32 v66, a86
	v_accvgpr_read_b32 v68, a88
	v_accvgpr_read_b32 v69, a89
	v_fma_f64 v[102:103], v[84:85], v[70:71], -v[64:65]
	v_accvgpr_read_b32 v67, a87
	v_mul_f64 v[92:93], v[68:69], v[74:75]
	v_mul_f64 v[64:65], v[68:69], v[72:73]
	v_fmac_f64_e32 v[92:93], v[66:67], v[72:73]
	v_fma_f64 v[86:87], v[66:67], v[74:75], -v[64:65]
	v_accvgpr_read_b32 v66, a82
	v_accvgpr_read_b32 v68, a84
	;; [unrolled: 1-line block ×4, first 2 shown]
	v_mul_f64 v[104:105], v[68:69], v[78:79]
	v_mul_f64 v[64:65], v[68:69], v[76:77]
	v_fmac_f64_e32 v[104:105], v[66:67], v[76:77]
	v_fma_f64 v[114:115], v[66:67], v[78:79], -v[64:65]
	v_accvgpr_read_b32 v64, a110
	v_accvgpr_read_b32 v66, a112
	;; [unrolled: 1-line block ×4, first 2 shown]
	v_mul_f64 v[94:95], v[66:67], v[62:63]
	v_fmac_f64_e32 v[94:95], v[64:65], v[60:61]
	v_mul_f64 v[60:61], v[66:67], v[60:61]
	v_fma_f64 v[88:89], v[64:65], v[62:63], -v[60:61]
	v_accvgpr_read_b32 v60, a106
	v_accvgpr_read_b32 v62, a108
	v_accvgpr_read_b32 v63, a109
	v_accvgpr_read_b32 v61, a107
	s_waitcnt lgkmcnt(13)
	v_mul_f64 v[146:147], v[62:63], v[58:59]
	v_fmac_f64_e32 v[146:147], v[60:61], v[56:57]
	v_mul_f64 v[56:57], v[62:63], v[56:57]
	v_fma_f64 v[138:139], v[60:61], v[58:59], -v[56:57]
	v_accvgpr_read_b32 v56, a102
	v_accvgpr_read_b32 v58, a104
	v_accvgpr_read_b32 v59, a105
	v_accvgpr_read_b32 v57, a103
	s_waitcnt lgkmcnt(12)
	;; [unrolled: 9-line block ×5, first 2 shown]
	v_mul_f64 v[58:59], v[52:53], v[46:47]
	v_mul_f64 v[42:43], v[52:53], v[44:45]
	v_fmac_f64_e32 v[58:59], v[50:51], v[44:45]
	v_fma_f64 v[62:63], v[50:51], v[46:47], -v[42:43]
	v_accvgpr_read_b32 v42, a146
	v_accvgpr_read_b32 v44, a148
	v_accvgpr_read_b32 v45, a149
	v_accvgpr_read_b32 v43, a147
	s_waitcnt lgkmcnt(7)
	v_mul_f64 v[72:73], v[44:45], v[38:39]
	v_fmac_f64_e32 v[72:73], v[42:43], v[36:37]
	v_mul_f64 v[36:37], v[44:45], v[36:37]
	v_fma_f64 v[64:65], v[42:43], v[38:39], -v[36:37]
	v_accvgpr_read_b32 v36, a138
	v_accvgpr_read_b32 v38, a140
	v_accvgpr_read_b32 v39, a141
	v_accvgpr_read_b32 v37, a139
	s_waitcnt lgkmcnt(6)
	v_mul_f64 v[52:53], v[38:39], v[34:35]
	v_fmac_f64_e32 v[52:53], v[36:37], v[32:33]
	v_mul_f64 v[32:33], v[38:39], v[32:33]
	;; [unrolled: 9-line block ×8, first 2 shown]
	v_fma_f64 v[50:51], v[8:9], v[6:7], -v[4:5]
	v_add_f64 v[4:5], v[24:25], v[96:97]
	v_add_f64 v[4:5], v[4:5], v[104:105]
	v_add_f64 v[4:5], v[4:5], v[146:147]
	v_add_f64 v[28:29], v[4:5], v[150:151]
	v_add_f64 v[4:5], v[104:105], v[146:147]
	v_fma_f64 v[30:31], -0.5, v[4:5], v[24:25]
	v_add_f64 v[4:5], v[102:103], -v[48:49]
	v_fma_f64 v[32:33], s[10:11], v[4:5], v[30:31]
	v_add_f64 v[6:7], v[114:115], -v[138:139]
	v_add_f64 v[8:9], v[96:97], -v[104:105]
	v_add_f64 v[10:11], v[150:151], -v[146:147]
	v_fmac_f64_e32 v[30:31], s[4:5], v[4:5]
	v_fmac_f64_e32 v[32:33], s[12:13], v[6:7]
	v_add_f64 v[8:9], v[8:9], v[10:11]
	v_fmac_f64_e32 v[30:31], s[2:3], v[6:7]
	v_fmac_f64_e32 v[32:33], s[8:9], v[8:9]
	v_fmac_f64_e32 v[30:31], s[8:9], v[8:9]
	v_add_f64 v[8:9], v[96:97], v[150:151]
	v_fmac_f64_e32 v[24:25], -0.5, v[8:9]
	v_fma_f64 v[38:39], s[4:5], v[6:7], v[24:25]
	v_fmac_f64_e32 v[24:25], s[10:11], v[6:7]
	v_fmac_f64_e32 v[38:39], s[12:13], v[4:5]
	v_fmac_f64_e32 v[24:25], s[2:3], v[4:5]
	v_add_f64 v[4:5], v[26:27], v[102:103]
	v_add_f64 v[4:5], v[4:5], v[114:115]
	v_add_f64 v[4:5], v[4:5], v[138:139]
	v_add_f64 v[8:9], v[104:105], -v[96:97]
	v_add_f64 v[10:11], v[146:147], -v[150:151]
	v_add_f64 v[34:35], v[4:5], v[48:49]
	v_add_f64 v[4:5], v[114:115], v[138:139]
	v_add_f64 v[8:9], v[8:9], v[10:11]
	v_fma_f64 v[84:85], -0.5, v[4:5], v[26:27]
	v_add_f64 v[4:5], v[96:97], -v[150:151]
	v_fmac_f64_e32 v[38:39], s[8:9], v[8:9]
	v_fmac_f64_e32 v[24:25], s[8:9], v[8:9]
	v_fma_f64 v[42:43], s[4:5], v[4:5], v[84:85]
	v_add_f64 v[6:7], v[104:105], -v[146:147]
	v_add_f64 v[8:9], v[102:103], -v[114:115]
	v_add_f64 v[10:11], v[48:49], -v[138:139]
	v_fmac_f64_e32 v[84:85], s[10:11], v[4:5]
	v_fmac_f64_e32 v[42:43], s[2:3], v[6:7]
	v_add_f64 v[8:9], v[8:9], v[10:11]
	v_fmac_f64_e32 v[84:85], s[12:13], v[6:7]
	v_fmac_f64_e32 v[42:43], s[8:9], v[8:9]
	v_fmac_f64_e32 v[84:85], s[8:9], v[8:9]
	v_add_f64 v[8:9], v[102:103], v[48:49]
	v_fmac_f64_e32 v[26:27], -0.5, v[8:9]
	v_fma_f64 v[96:97], s[10:11], v[6:7], v[26:27]
	v_fmac_f64_e32 v[26:27], s[4:5], v[6:7]
	v_fmac_f64_e32 v[96:97], s[2:3], v[4:5]
	v_fmac_f64_e32 v[26:27], s[12:13], v[4:5]
	v_add_f64 v[4:5], v[80:81], v[92:93]
	v_add_f64 v[4:5], v[4:5], v[94:95]
	v_add_f64 v[4:5], v[4:5], v[98:99]
	v_add_f64 v[8:9], v[114:115], -v[102:103]
	v_add_f64 v[10:11], v[138:139], -v[48:49]
	v_add_f64 v[36:37], v[4:5], v[100:101]
	v_add_f64 v[4:5], v[94:95], v[98:99]
	v_add_f64 v[8:9], v[8:9], v[10:11]
	v_fma_f64 v[18:19], -0.5, v[4:5], v[80:81]
	v_add_f64 v[4:5], v[86:87], -v[40:41]
	v_fmac_f64_e32 v[96:97], s[8:9], v[8:9]
	v_fmac_f64_e32 v[26:27], s[8:9], v[8:9]
	;; [unrolled: 28-line block ×3, first 2 shown]
	v_fma_f64 v[10:11], s[4:5], v[4:5], v[48:49]
	v_add_f64 v[8:9], v[94:95], -v[98:99]
	v_add_f64 v[12:13], v[86:87], -v[88:89]
	;; [unrolled: 1-line block ×3, first 2 shown]
	v_fmac_f64_e32 v[48:49], s[10:11], v[4:5]
	v_fmac_f64_e32 v[10:11], s[2:3], v[8:9]
	v_add_f64 v[12:13], v[12:13], v[14:15]
	v_fmac_f64_e32 v[48:49], s[12:13], v[8:9]
	v_fmac_f64_e32 v[10:11], s[8:9], v[12:13]
	v_fmac_f64_e32 v[48:49], s[8:9], v[12:13]
	v_add_f64 v[12:13], v[86:87], v[40:41]
	v_fmac_f64_e32 v[82:83], -0.5, v[12:13]
	v_fma_f64 v[92:93], s[10:11], v[8:9], v[82:83]
	v_add_f64 v[12:13], v[88:89], -v[86:87]
	v_add_f64 v[14:15], v[90:91], -v[40:41]
	v_fmac_f64_e32 v[82:83], s[4:5], v[8:9]
	v_fmac_f64_e32 v[92:93], s[2:3], v[4:5]
	v_add_f64 v[12:13], v[12:13], v[14:15]
	v_fmac_f64_e32 v[82:83], s[12:13], v[4:5]
	v_fmac_f64_e32 v[92:93], s[8:9], v[12:13]
	;; [unrolled: 1-line block ×3, first 2 shown]
	v_mul_f64 v[86:87], v[92:93], s[10:11]
	v_mul_f64 v[88:89], v[82:83], s[10:11]
	;; [unrolled: 1-line block ×6, first 2 shown]
	v_fmac_f64_e32 v[86:87], s[8:9], v[22:23]
	v_fmac_f64_e32 v[94:95], s[2:3], v[6:7]
	v_mul_f64 v[92:93], v[92:93], s[8:9]
	v_fmac_f64_e32 v[82:83], s[4:5], v[80:81]
	v_fmac_f64_e32 v[48:49], s[2:3], v[18:19]
	v_add_f64 v[12:13], v[28:29], v[36:37]
	v_mul_f64 v[40:41], v[10:11], s[12:13]
	v_add_f64 v[4:5], v[38:39], v[86:87]
	v_fmac_f64_e32 v[90:91], s[16:17], v[18:19]
	v_add_f64 v[14:15], v[34:35], v[102:103]
	v_add_f64 v[10:11], v[42:43], v[94:95]
	v_fmac_f64_e32 v[92:93], s[4:5], v[22:23]
	v_add_f64 v[22:23], v[26:27], v[82:83]
	v_add_f64 v[18:19], v[84:85], v[48:49]
	v_add_f64 v[36:37], v[28:29], -v[36:37]
	v_add_f64 v[28:29], v[38:39], -v[86:87]
	;; [unrolled: 1-line block ×6, first 2 shown]
	v_add_f64 v[48:49], v[0:1], v[72:73]
	v_add_f64 v[48:49], v[48:49], v[74:75]
	;; [unrolled: 1-line block ×5, first 2 shown]
	v_fmac_f64_e32 v[40:41], s[18:19], v[6:7]
	v_fmac_f64_e32 v[88:89], s[14:15], v[80:81]
	v_fma_f64 v[80:81], -0.5, v[48:49], v[0:1]
	v_add_f64 v[48:49], v[64:65], -v[70:71]
	v_add_f64 v[8:9], v[32:33], v[40:41]
	v_add_f64 v[20:21], v[24:25], v[88:89]
	;; [unrolled: 1-line block ×3, first 2 shown]
	v_add_f64 v[32:33], v[32:33], -v[40:41]
	v_add_f64 v[40:41], v[24:25], -v[88:89]
	;; [unrolled: 1-line block ×3, first 2 shown]
	v_fma_f64 v[84:85], s[10:11], v[48:49], v[80:81]
	v_add_f64 v[86:87], v[66:67], -v[68:69]
	v_add_f64 v[88:89], v[72:73], -v[74:75]
	;; [unrolled: 1-line block ×3, first 2 shown]
	v_fmac_f64_e32 v[80:81], s[4:5], v[48:49]
	v_fmac_f64_e32 v[84:85], s[12:13], v[86:87]
	v_add_f64 v[88:89], v[88:89], v[90:91]
	v_fmac_f64_e32 v[80:81], s[2:3], v[86:87]
	v_fmac_f64_e32 v[84:85], s[8:9], v[88:89]
	;; [unrolled: 1-line block ×3, first 2 shown]
	v_add_f64 v[88:89], v[72:73], v[78:79]
	v_fmac_f64_e32 v[0:1], -0.5, v[88:89]
	v_fma_f64 v[90:91], s[4:5], v[86:87], v[0:1]
	v_fmac_f64_e32 v[0:1], s[10:11], v[86:87]
	v_fmac_f64_e32 v[90:91], s[12:13], v[48:49]
	;; [unrolled: 1-line block ×3, first 2 shown]
	v_add_f64 v[48:49], v[2:3], v[64:65]
	v_add_f64 v[48:49], v[48:49], v[66:67]
	;; [unrolled: 1-line block ×3, first 2 shown]
	v_add_f64 v[30:31], v[96:97], -v[92:93]
	v_add_f64 v[88:89], v[74:75], -v[72:73]
	;; [unrolled: 1-line block ×3, first 2 shown]
	v_add_f64 v[48:49], v[48:49], v[68:69]
	v_add_f64 v[88:89], v[88:89], v[92:93]
	v_add_f64 v[86:87], v[48:49], v[70:71]
	v_add_f64 v[48:49], v[66:67], v[68:69]
	v_fmac_f64_e32 v[90:91], s[8:9], v[88:89]
	v_fmac_f64_e32 v[0:1], s[8:9], v[88:89]
	v_fma_f64 v[88:89], -0.5, v[48:49], v[2:3]
	v_add_f64 v[48:49], v[72:73], -v[78:79]
	v_fma_f64 v[78:79], s[4:5], v[48:49], v[88:89]
	v_add_f64 v[72:73], v[74:75], -v[76:77]
	v_add_f64 v[74:75], v[64:65], -v[66:67]
	;; [unrolled: 1-line block ×3, first 2 shown]
	v_fmac_f64_e32 v[88:89], s[10:11], v[48:49]
	v_fmac_f64_e32 v[78:79], s[2:3], v[72:73]
	v_add_f64 v[74:75], v[74:75], v[76:77]
	v_fmac_f64_e32 v[88:89], s[12:13], v[72:73]
	v_fmac_f64_e32 v[78:79], s[8:9], v[74:75]
	;; [unrolled: 1-line block ×3, first 2 shown]
	v_add_f64 v[74:75], v[64:65], v[70:71]
	v_fmac_f64_e32 v[2:3], -0.5, v[74:75]
	v_fma_f64 v[92:93], s[10:11], v[72:73], v[2:3]
	v_fmac_f64_e32 v[2:3], s[4:5], v[72:73]
	v_fmac_f64_e32 v[92:93], s[2:3], v[48:49]
	v_fmac_f64_e32 v[2:3], s[12:13], v[48:49]
	v_add_f64 v[48:49], v[58:59], v[52:53]
	v_add_f64 v[64:65], v[66:67], -v[64:65]
	v_add_f64 v[66:67], v[68:69], -v[70:71]
	v_add_f64 v[48:49], v[48:49], v[54:55]
	v_add_f64 v[64:65], v[64:65], v[66:67]
	;; [unrolled: 1-line block ×3, first 2 shown]
	v_fmac_f64_e32 v[92:93], s[8:9], v[64:65]
	v_fmac_f64_e32 v[2:3], s[8:9], v[64:65]
	v_add_f64 v[64:65], v[48:49], v[60:61]
	v_add_f64 v[48:49], v[54:55], v[56:57]
	v_fma_f64 v[66:67], -0.5, v[48:49], v[58:59]
	v_add_f64 v[48:49], v[44:45], -v[50:51]
	v_fma_f64 v[68:69], s[10:11], v[48:49], v[66:67]
	v_add_f64 v[70:71], v[46:47], -v[140:141]
	v_add_f64 v[72:73], v[52:53], -v[54:55]
	;; [unrolled: 1-line block ×3, first 2 shown]
	v_fmac_f64_e32 v[66:67], s[4:5], v[48:49]
	v_fmac_f64_e32 v[68:69], s[12:13], v[70:71]
	v_add_f64 v[72:73], v[72:73], v[74:75]
	v_fmac_f64_e32 v[66:67], s[2:3], v[70:71]
	v_fmac_f64_e32 v[68:69], s[8:9], v[72:73]
	v_fmac_f64_e32 v[66:67], s[8:9], v[72:73]
	v_add_f64 v[72:73], v[52:53], v[60:61]
	v_fmac_f64_e32 v[58:59], -0.5, v[72:73]
	v_fma_f64 v[72:73], s[4:5], v[70:71], v[58:59]
	v_fmac_f64_e32 v[58:59], s[10:11], v[70:71]
	v_fmac_f64_e32 v[72:73], s[12:13], v[48:49]
	;; [unrolled: 1-line block ×3, first 2 shown]
	v_add_f64 v[48:49], v[62:63], v[44:45]
	v_add_f64 v[48:49], v[48:49], v[46:47]
	v_add_f64 v[74:75], v[54:55], -v[52:53]
	v_add_f64 v[76:77], v[56:57], -v[60:61]
	v_add_f64 v[48:49], v[48:49], v[140:141]
	v_add_f64 v[74:75], v[74:75], v[76:77]
	;; [unrolled: 1-line block ×4, first 2 shown]
	v_fmac_f64_e32 v[72:73], s[8:9], v[74:75]
	v_fmac_f64_e32 v[58:59], s[8:9], v[74:75]
	v_fma_f64 v[74:75], -0.5, v[48:49], v[62:63]
	v_add_f64 v[48:49], v[52:53], -v[60:61]
	v_fma_f64 v[76:77], s[4:5], v[48:49], v[74:75]
	v_add_f64 v[52:53], v[54:55], -v[56:57]
	v_add_f64 v[54:55], v[44:45], -v[46:47]
	;; [unrolled: 1-line block ×3, first 2 shown]
	v_fmac_f64_e32 v[74:75], s[10:11], v[48:49]
	v_fmac_f64_e32 v[76:77], s[2:3], v[52:53]
	v_add_f64 v[54:55], v[54:55], v[56:57]
	v_fmac_f64_e32 v[74:75], s[12:13], v[52:53]
	v_fmac_f64_e32 v[76:77], s[8:9], v[54:55]
	v_fmac_f64_e32 v[74:75], s[8:9], v[54:55]
	v_add_f64 v[54:55], v[44:45], v[50:51]
	v_fmac_f64_e32 v[62:63], -0.5, v[54:55]
	v_fma_f64 v[94:95], s[10:11], v[52:53], v[62:63]
	v_add_f64 v[44:45], v[46:47], -v[44:45]
	v_add_f64 v[46:47], v[140:141], -v[50:51]
	v_fmac_f64_e32 v[62:63], s[4:5], v[52:53]
	v_fmac_f64_e32 v[94:95], s[2:3], v[48:49]
	v_add_f64 v[44:45], v[44:45], v[46:47]
	v_fmac_f64_e32 v[62:63], s[12:13], v[48:49]
	v_fmac_f64_e32 v[94:95], s[8:9], v[44:45]
	;; [unrolled: 1-line block ×3, first 2 shown]
	v_mul_f64 v[96:97], v[76:77], s[12:13]
	v_mul_f64 v[98:99], v[94:95], s[10:11]
	;; [unrolled: 1-line block ×8, first 2 shown]
	v_fmac_f64_e32 v[96:97], s[18:19], v[68:69]
	v_fmac_f64_e32 v[98:99], s[8:9], v[72:73]
	;; [unrolled: 1-line block ×8, first 2 shown]
	v_add_f64 v[52:53], v[82:83], v[64:65]
	v_add_f64 v[48:49], v[84:85], v[96:97]
	;; [unrolled: 1-line block ×10, first 2 shown]
	v_add_f64 v[72:73], v[82:83], -v[64:65]
	v_add_f64 v[68:69], v[84:85], -v[96:97]
	;; [unrolled: 1-line block ×10, first 2 shown]
	s_barrier
	ds_write_b128 v136, v[12:15]
	ds_write_b128 v136, v[8:11] offset:160
	ds_write_b128 v136, v[4:7] offset:320
	;; [unrolled: 1-line block ×9, first 2 shown]
	ds_write_b128 v107, v[52:55]
	ds_write_b128 v107, v[48:51] offset:160
	ds_write_b128 v107, v[44:47] offset:320
	;; [unrolled: 1-line block ×9, first 2 shown]
	s_waitcnt lgkmcnt(0)
	s_barrier
	ds_read_b128 v[4:7], v108
	ds_read_b128 v[60:63], v108 offset:6400
	ds_read_b128 v[64:67], v108 offset:12800
	;; [unrolled: 1-line block ×19, first 2 shown]
	s_waitcnt lgkmcnt(14)
	v_mul_f64 v[80:81], v[178:179], v[62:63]
	v_fmac_f64_e32 v[80:81], v[176:177], v[60:61]
	v_mul_f64 v[60:61], v[178:179], v[60:61]
	v_mul_f64 v[90:91], v[154:155], v[66:67]
	v_fma_f64 v[82:83], v[176:177], v[62:63], -v[60:61]
	v_fmac_f64_e32 v[90:91], v[152:153], v[64:65]
	v_mul_f64 v[60:61], v[154:155], v[64:65]
	v_accvgpr_read_b32 v62, a158
	v_accvgpr_read_b32 v64, a160
	;; [unrolled: 1-line block ×3, first 2 shown]
	v_fma_f64 v[92:93], v[152:153], v[66:67], -v[60:61]
	v_accvgpr_read_b32 v63, a159
	v_mul_f64 v[94:95], v[64:65], v[70:71]
	v_mul_f64 v[60:61], v[64:65], v[68:69]
	v_fmac_f64_e32 v[94:95], v[62:63], v[68:69]
	v_fma_f64 v[86:87], v[62:63], v[70:71], -v[60:61]
	v_accvgpr_read_b32 v62, a154
	v_accvgpr_read_b32 v64, a156
	;; [unrolled: 1-line block ×4, first 2 shown]
	v_mul_f64 v[96:97], v[64:65], v[74:75]
	v_mul_f64 v[60:61], v[64:65], v[72:73]
	s_waitcnt lgkmcnt(12)
	v_mul_f64 v[114:115], v[158:159], v[54:55]
	v_fmac_f64_e32 v[96:97], v[62:63], v[72:73]
	v_fma_f64 v[98:99], v[62:63], v[74:75], -v[60:61]
	v_mul_f64 v[102:103], v[174:175], v[58:59]
	v_fmac_f64_e32 v[114:115], v[156:157], v[52:53]
	v_mul_f64 v[52:53], v[158:159], v[52:53]
	s_waitcnt lgkmcnt(0)
	v_mul_f64 v[62:63], v[210:211], v[10:11]
	v_fmac_f64_e32 v[102:103], v[172:173], v[56:57]
	v_mul_f64 v[56:57], v[174:175], v[56:57]
	v_fma_f64 v[138:139], v[156:157], v[54:55], -v[52:53]
	v_accvgpr_read_b32 v52, a162
	v_fmac_f64_e32 v[62:63], v[208:209], v[8:9]
	v_mul_f64 v[8:9], v[210:211], v[8:9]
	v_fma_f64 v[104:105], v[172:173], v[58:59], -v[56:57]
	v_accvgpr_read_b32 v54, a164
	v_accvgpr_read_b32 v55, a165
	v_fma_f64 v[58:59], v[208:209], v[10:11], -v[8:9]
	v_add_f64 v[8:9], v[4:5], v[90:91]
	v_accvgpr_read_b32 v53, a163
	v_mul_f64 v[140:141], v[54:55], v[50:51]
	v_mul_f64 v[72:73], v[194:195], v[30:31]
	v_add_f64 v[8:9], v[8:9], v[96:97]
	v_mul_f64 v[60:61], v[182:183], v[76:77]
	v_fmac_f64_e32 v[140:141], v[52:53], v[48:49]
	v_mul_f64 v[48:49], v[54:55], v[48:49]
	v_mul_f64 v[150:151], v[186:187], v[38:39]
	v_fmac_f64_e32 v[72:73], v[192:193], v[28:29]
	v_mul_f64 v[28:29], v[194:195], v[28:29]
	v_add_f64 v[8:9], v[8:9], v[102:103]
	v_mul_f64 v[100:101], v[182:183], v[78:79]
	v_fma_f64 v[88:89], v[180:181], v[78:79], -v[60:61]
	v_fma_f64 v[146:147], v[52:53], v[50:51], -v[48:49]
	v_fmac_f64_e32 v[150:151], v[184:185], v[36:37]
	v_mul_f64 v[36:37], v[186:187], v[36:37]
	v_mul_f64 v[52:53], v[202:203], v[34:35]
	v_fma_f64 v[66:67], v[192:193], v[30:31], -v[28:29]
	v_mul_f64 v[78:79], v[190:191], v[14:15]
	v_add_f64 v[28:29], v[8:9], v[140:141]
	v_add_f64 v[8:9], v[96:97], v[102:103]
	v_fma_f64 v[36:37], v[184:185], v[38:39], -v[36:37]
	v_mul_f64 v[48:49], v[222:223], v[46:47]
	v_mul_f64 v[38:39], v[222:223], v[44:45]
	v_fmac_f64_e32 v[52:53], v[200:201], v[32:33]
	v_mul_f64 v[32:33], v[202:203], v[32:33]
	v_fmac_f64_e32 v[78:79], v[188:189], v[12:13]
	v_mul_f64 v[12:13], v[190:191], v[12:13]
	v_fma_f64 v[30:31], -0.5, v[8:9], v[4:5]
	v_add_f64 v[8:9], v[92:93], -v[146:147]
	v_fmac_f64_e32 v[48:49], v[220:221], v[44:45]
	v_fma_f64 v[44:45], v[220:221], v[46:47], -v[38:39]
	v_fma_f64 v[46:47], v[200:201], v[34:35], -v[32:33]
	v_fma_f64 v[74:75], v[188:189], v[14:15], -v[12:13]
	v_fma_f64 v[32:33], s[10:11], v[8:9], v[30:31]
	v_add_f64 v[10:11], v[98:99], -v[104:105]
	v_add_f64 v[12:13], v[90:91], -v[96:97]
	;; [unrolled: 1-line block ×3, first 2 shown]
	v_fmac_f64_e32 v[30:31], s[4:5], v[8:9]
	v_fmac_f64_e32 v[32:33], s[12:13], v[10:11]
	v_add_f64 v[12:13], v[12:13], v[14:15]
	v_fmac_f64_e32 v[30:31], s[2:3], v[10:11]
	v_fmac_f64_e32 v[32:33], s[8:9], v[12:13]
	;; [unrolled: 1-line block ×3, first 2 shown]
	v_add_f64 v[12:13], v[90:91], v[140:141]
	v_mul_f64 v[38:39], v[214:215], v[40:41]
	v_fmac_f64_e32 v[4:5], -0.5, v[12:13]
	v_fma_f64 v[64:65], v[212:213], v[42:43], -v[38:39]
	v_fma_f64 v[38:39], s[4:5], v[10:11], v[4:5]
	v_fmac_f64_e32 v[4:5], s[10:11], v[10:11]
	v_fmac_f64_e32 v[38:39], s[12:13], v[8:9]
	;; [unrolled: 1-line block ×3, first 2 shown]
	v_add_f64 v[8:9], v[6:7], v[92:93]
	v_add_f64 v[8:9], v[8:9], v[98:99]
	;; [unrolled: 1-line block ×3, first 2 shown]
	v_mul_f64 v[68:69], v[214:215], v[42:43]
	v_add_f64 v[12:13], v[96:97], -v[90:91]
	v_add_f64 v[14:15], v[102:103], -v[140:141]
	v_add_f64 v[42:43], v[8:9], v[146:147]
	v_add_f64 v[8:9], v[98:99], v[104:105]
	;; [unrolled: 1-line block ×3, first 2 shown]
	v_fma_f64 v[84:85], -0.5, v[8:9], v[6:7]
	v_add_f64 v[8:9], v[90:91], -v[140:141]
	v_fmac_f64_e32 v[38:39], s[8:9], v[12:13]
	v_fmac_f64_e32 v[4:5], s[8:9], v[12:13]
	v_fma_f64 v[34:35], s[4:5], v[8:9], v[84:85]
	v_add_f64 v[10:11], v[96:97], -v[102:103]
	v_add_f64 v[12:13], v[92:93], -v[98:99]
	;; [unrolled: 1-line block ×3, first 2 shown]
	v_fmac_f64_e32 v[84:85], s[10:11], v[8:9]
	v_fmac_f64_e32 v[34:35], s[2:3], v[10:11]
	v_add_f64 v[12:13], v[12:13], v[14:15]
	v_fmac_f64_e32 v[84:85], s[12:13], v[10:11]
	v_fmac_f64_e32 v[34:35], s[8:9], v[12:13]
	;; [unrolled: 1-line block ×3, first 2 shown]
	v_add_f64 v[12:13], v[92:93], v[146:147]
	v_fmac_f64_e32 v[6:7], -0.5, v[12:13]
	v_fma_f64 v[90:91], s[10:11], v[10:11], v[6:7]
	v_fmac_f64_e32 v[6:7], s[4:5], v[10:11]
	v_fmac_f64_e32 v[100:101], v[180:181], v[76:77]
	;; [unrolled: 1-line block ×4, first 2 shown]
	v_add_f64 v[8:9], v[80:81], v[94:95]
	v_add_f64 v[8:9], v[8:9], v[100:101]
	v_add_f64 v[8:9], v[8:9], v[114:115]
	v_fmac_f64_e32 v[68:69], v[212:213], v[40:41]
	v_mul_f64 v[60:61], v[198:199], v[18:19]
	v_add_f64 v[12:13], v[98:99], -v[92:93]
	v_add_f64 v[14:15], v[104:105], -v[146:147]
	v_add_f64 v[40:41], v[8:9], v[150:151]
	v_add_f64 v[8:9], v[100:101], v[114:115]
	v_fmac_f64_e32 v[60:61], v[196:197], v[16:17]
	v_mul_f64 v[16:17], v[198:199], v[16:17]
	v_add_f64 v[12:13], v[12:13], v[14:15]
	v_fma_f64 v[10:11], -0.5, v[8:9], v[80:81]
	v_add_f64 v[8:9], v[86:87], -v[36:37]
	v_fma_f64 v[54:55], v[196:197], v[18:19], -v[16:17]
	v_fmac_f64_e32 v[90:91], s[8:9], v[12:13]
	v_fmac_f64_e32 v[6:7], s[8:9], v[12:13]
	v_fma_f64 v[14:15], s[10:11], v[8:9], v[10:11]
	v_add_f64 v[12:13], v[88:89], -v[138:139]
	v_add_f64 v[16:17], v[94:95], -v[100:101]
	;; [unrolled: 1-line block ×3, first 2 shown]
	v_fmac_f64_e32 v[10:11], s[4:5], v[8:9]
	v_fmac_f64_e32 v[14:15], s[12:13], v[12:13]
	v_add_f64 v[16:17], v[16:17], v[18:19]
	v_fmac_f64_e32 v[10:11], s[2:3], v[12:13]
	v_mul_f64 v[56:57], v[218:219], v[26:27]
	v_fmac_f64_e32 v[14:15], s[8:9], v[16:17]
	v_fmac_f64_e32 v[10:11], s[8:9], v[16:17]
	v_add_f64 v[16:17], v[94:95], v[150:151]
	v_fmac_f64_e32 v[56:57], v[216:217], v[24:25]
	v_mul_f64 v[24:25], v[218:219], v[24:25]
	v_fmac_f64_e32 v[80:81], -0.5, v[16:17]
	v_fma_f64 v[50:51], v[216:217], v[26:27], -v[24:25]
	v_fma_f64 v[26:27], s[4:5], v[12:13], v[80:81]
	v_fmac_f64_e32 v[80:81], s[10:11], v[12:13]
	v_fmac_f64_e32 v[26:27], s[12:13], v[8:9]
	;; [unrolled: 1-line block ×3, first 2 shown]
	v_add_f64 v[8:9], v[82:83], v[86:87]
	v_add_f64 v[8:9], v[8:9], v[88:89]
	v_add_f64 v[8:9], v[8:9], v[138:139]
	v_mul_f64 v[76:77], v[206:207], v[22:23]
	v_add_f64 v[16:17], v[100:101], -v[94:95]
	v_add_f64 v[18:19], v[114:115], -v[150:151]
	v_add_f64 v[92:93], v[8:9], v[36:37]
	v_add_f64 v[8:9], v[88:89], v[138:139]
	v_fmac_f64_e32 v[76:77], v[204:205], v[20:21]
	v_mul_f64 v[20:21], v[206:207], v[20:21]
	v_add_f64 v[16:17], v[16:17], v[18:19]
	v_fma_f64 v[96:97], -0.5, v[8:9], v[82:83]
	v_add_f64 v[8:9], v[94:95], -v[150:151]
	v_fma_f64 v[70:71], v[204:205], v[22:23], -v[20:21]
	v_fmac_f64_e32 v[26:27], s[8:9], v[16:17]
	v_fmac_f64_e32 v[80:81], s[8:9], v[16:17]
	v_fma_f64 v[22:23], s[4:5], v[8:9], v[96:97]
	v_add_f64 v[12:13], v[100:101], -v[114:115]
	v_add_f64 v[16:17], v[86:87], -v[88:89]
	;; [unrolled: 1-line block ×3, first 2 shown]
	v_fmac_f64_e32 v[96:97], s[10:11], v[8:9]
	v_fmac_f64_e32 v[22:23], s[2:3], v[12:13]
	v_add_f64 v[16:17], v[16:17], v[18:19]
	v_fmac_f64_e32 v[96:97], s[12:13], v[12:13]
	v_fmac_f64_e32 v[22:23], s[8:9], v[16:17]
	;; [unrolled: 1-line block ×3, first 2 shown]
	v_add_f64 v[16:17], v[86:87], v[36:37]
	v_fmac_f64_e32 v[82:83], -0.5, v[16:17]
	v_fma_f64 v[94:95], s[10:11], v[12:13], v[82:83]
	v_add_f64 v[16:17], v[88:89], -v[86:87]
	v_add_f64 v[18:19], v[138:139], -v[36:37]
	v_fmac_f64_e32 v[82:83], s[4:5], v[12:13]
	v_add_f64 v[16:17], v[16:17], v[18:19]
	v_fmac_f64_e32 v[82:83], s[12:13], v[8:9]
	v_fmac_f64_e32 v[94:95], s[2:3], v[8:9]
	;; [unrolled: 1-line block ×4, first 2 shown]
	v_mul_f64 v[88:89], v[82:83], s[10:11]
	v_mul_f64 v[98:99], v[96:97], s[12:13]
	;; [unrolled: 1-line block ×5, first 2 shown]
	v_fmac_f64_e32 v[88:89], s[14:15], v[80:81]
	v_fmac_f64_e32 v[98:99], s[16:17], v[10:11]
	v_mul_f64 v[100:101], v[22:23], s[18:19]
	v_fmac_f64_e32 v[82:83], s[4:5], v[80:81]
	v_add_f64 v[16:17], v[28:29], v[40:41]
	v_fmac_f64_e32 v[36:37], s[18:19], v[14:15]
	v_fmac_f64_e32 v[86:87], s[8:9], v[26:27]
	v_add_f64 v[12:13], v[4:5], v[88:89]
	v_add_f64 v[8:9], v[30:31], v[98:99]
	v_fmac_f64_e32 v[100:101], s[2:3], v[14:15]
	v_mul_f64 v[94:95], v[94:95], s[8:9]
	v_add_f64 v[14:15], v[6:7], v[82:83]
	v_mul_f64 v[80:81], v[96:97], s[16:17]
	v_add_f64 v[40:41], v[28:29], -v[40:41]
	v_add_f64 v[28:29], v[4:5], -v[88:89]
	;; [unrolled: 1-line block ×4, first 2 shown]
	v_add_f64 v[82:83], v[72:73], v[76:77]
	v_add_f64 v[20:21], v[32:33], v[36:37]
	;; [unrolled: 1-line block ×3, first 2 shown]
	v_fmac_f64_e32 v[94:95], s[4:5], v[26:27]
	v_fmac_f64_e32 v[80:81], s[2:3], v[10:11]
	v_add_f64 v[36:37], v[32:33], -v[36:37]
	v_add_f64 v[32:33], v[38:39], -v[86:87]
	v_fma_f64 v[82:83], -0.5, v[82:83], v[0:1]
	v_add_f64 v[86:87], v[64:65], -v[74:75]
	v_add_f64 v[18:19], v[42:43], v[92:93]
	v_add_f64 v[22:23], v[34:35], v[100:101]
	;; [unrolled: 1-line block ×4, first 2 shown]
	v_add_f64 v[42:43], v[42:43], -v[92:93]
	v_add_f64 v[38:39], v[34:35], -v[100:101]
	;; [unrolled: 1-line block ×4, first 2 shown]
	v_fma_f64 v[84:85], s[10:11], v[86:87], v[82:83]
	v_add_f64 v[90:91], v[66:67], -v[70:71]
	v_add_f64 v[88:89], v[68:69], -v[72:73]
	;; [unrolled: 1-line block ×3, first 2 shown]
	v_fmac_f64_e32 v[82:83], s[4:5], v[86:87]
	v_fmac_f64_e32 v[84:85], s[12:13], v[90:91]
	v_add_f64 v[88:89], v[88:89], v[92:93]
	v_fmac_f64_e32 v[82:83], s[2:3], v[90:91]
	v_fmac_f64_e32 v[84:85], s[8:9], v[88:89]
	;; [unrolled: 1-line block ×3, first 2 shown]
	v_add_f64 v[88:89], v[68:69], v[78:79]
	v_add_f64 v[80:81], v[0:1], v[68:69]
	v_fmac_f64_e32 v[0:1], -0.5, v[88:89]
	v_fma_f64 v[88:89], s[4:5], v[90:91], v[0:1]
	v_fmac_f64_e32 v[0:1], s[10:11], v[90:91]
	v_fmac_f64_e32 v[88:89], s[12:13], v[86:87]
	;; [unrolled: 1-line block ×3, first 2 shown]
	v_add_f64 v[86:87], v[2:3], v[64:65]
	v_add_f64 v[86:87], v[86:87], v[66:67]
	;; [unrolled: 1-line block ×5, first 2 shown]
	v_add_f64 v[92:93], v[72:73], -v[68:69]
	v_add_f64 v[94:95], v[76:77], -v[78:79]
	v_add_f64 v[90:91], v[86:87], v[74:75]
	v_add_f64 v[86:87], v[66:67], v[70:71]
	;; [unrolled: 1-line block ×4, first 2 shown]
	v_fma_f64 v[86:87], -0.5, v[86:87], v[2:3]
	v_add_f64 v[78:79], v[68:69], -v[78:79]
	v_fmac_f64_e32 v[88:89], s[8:9], v[92:93]
	v_fmac_f64_e32 v[0:1], s[8:9], v[92:93]
	v_fma_f64 v[68:69], s[4:5], v[78:79], v[86:87]
	v_add_f64 v[76:77], v[72:73], -v[76:77]
	v_add_f64 v[72:73], v[64:65], -v[66:67]
	;; [unrolled: 1-line block ×3, first 2 shown]
	v_fmac_f64_e32 v[86:87], s[10:11], v[78:79]
	v_fmac_f64_e32 v[68:69], s[2:3], v[76:77]
	v_add_f64 v[72:73], v[72:73], v[92:93]
	v_fmac_f64_e32 v[86:87], s[12:13], v[76:77]
	v_fmac_f64_e32 v[68:69], s[8:9], v[72:73]
	v_fmac_f64_e32 v[86:87], s[8:9], v[72:73]
	v_add_f64 v[72:73], v[64:65], v[74:75]
	v_fmac_f64_e32 v[2:3], -0.5, v[72:73]
	v_fma_f64 v[72:73], s[10:11], v[76:77], v[2:3]
	v_add_f64 v[64:65], v[66:67], -v[64:65]
	v_add_f64 v[66:67], v[70:71], -v[74:75]
	v_fmac_f64_e32 v[2:3], s[4:5], v[76:77]
	v_fmac_f64_e32 v[72:73], s[2:3], v[78:79]
	v_add_f64 v[64:65], v[64:65], v[66:67]
	v_fmac_f64_e32 v[2:3], s[12:13], v[78:79]
	v_fmac_f64_e32 v[72:73], s[8:9], v[64:65]
	;; [unrolled: 1-line block ×3, first 2 shown]
	v_add_f64 v[64:65], v[48:49], v[52:53]
	v_add_f64 v[64:65], v[64:65], v[56:57]
	;; [unrolled: 1-line block ×5, first 2 shown]
	v_fma_f64 v[64:65], -0.5, v[64:65], v[48:49]
	v_add_f64 v[70:71], v[46:47], -v[58:59]
	v_fma_f64 v[74:75], s[10:11], v[70:71], v[64:65]
	v_add_f64 v[76:77], v[50:51], -v[54:55]
	v_add_f64 v[78:79], v[52:53], -v[56:57]
	;; [unrolled: 1-line block ×3, first 2 shown]
	v_fmac_f64_e32 v[64:65], s[4:5], v[70:71]
	v_fmac_f64_e32 v[74:75], s[12:13], v[76:77]
	v_add_f64 v[78:79], v[78:79], v[92:93]
	v_fmac_f64_e32 v[64:65], s[2:3], v[76:77]
	v_fmac_f64_e32 v[74:75], s[8:9], v[78:79]
	;; [unrolled: 1-line block ×3, first 2 shown]
	v_add_f64 v[78:79], v[52:53], v[62:63]
	v_fmac_f64_e32 v[48:49], -0.5, v[78:79]
	v_fma_f64 v[78:79], s[4:5], v[76:77], v[48:49]
	v_fmac_f64_e32 v[48:49], s[10:11], v[76:77]
	v_fmac_f64_e32 v[78:79], s[12:13], v[70:71]
	;; [unrolled: 1-line block ×3, first 2 shown]
	v_add_f64 v[70:71], v[44:45], v[46:47]
	v_add_f64 v[70:71], v[70:71], v[50:51]
	;; [unrolled: 1-line block ×3, first 2 shown]
	v_add_f64 v[92:93], v[56:57], -v[52:53]
	v_add_f64 v[94:95], v[60:61], -v[62:63]
	v_add_f64 v[76:77], v[70:71], v[58:59]
	v_add_f64 v[70:71], v[50:51], v[54:55]
	;; [unrolled: 1-line block ×3, first 2 shown]
	v_fma_f64 v[70:71], -0.5, v[70:71], v[44:45]
	v_add_f64 v[52:53], v[52:53], -v[62:63]
	v_fmac_f64_e32 v[78:79], s[8:9], v[92:93]
	v_fmac_f64_e32 v[48:49], s[8:9], v[92:93]
	v_fma_f64 v[92:93], s[4:5], v[52:53], v[70:71]
	v_add_f64 v[56:57], v[56:57], -v[60:61]
	v_add_f64 v[60:61], v[46:47], -v[50:51]
	;; [unrolled: 1-line block ×3, first 2 shown]
	v_fmac_f64_e32 v[70:71], s[10:11], v[52:53]
	v_fmac_f64_e32 v[92:93], s[2:3], v[56:57]
	v_add_f64 v[60:61], v[60:61], v[62:63]
	v_fmac_f64_e32 v[70:71], s[12:13], v[56:57]
	v_fmac_f64_e32 v[92:93], s[8:9], v[60:61]
	;; [unrolled: 1-line block ×3, first 2 shown]
	v_add_f64 v[60:61], v[46:47], v[58:59]
	v_fmac_f64_e32 v[44:45], -0.5, v[60:61]
	v_fma_f64 v[60:61], s[10:11], v[56:57], v[44:45]
	v_add_f64 v[46:47], v[50:51], -v[46:47]
	v_add_f64 v[50:51], v[54:55], -v[58:59]
	v_fmac_f64_e32 v[44:45], s[4:5], v[56:57]
	v_fmac_f64_e32 v[60:61], s[2:3], v[52:53]
	v_add_f64 v[46:47], v[46:47], v[50:51]
	v_fmac_f64_e32 v[44:45], s[12:13], v[52:53]
	v_fmac_f64_e32 v[60:61], s[8:9], v[46:47]
	;; [unrolled: 1-line block ×3, first 2 shown]
	v_mul_f64 v[94:95], v[92:93], s[12:13]
	v_mul_f64 v[96:97], v[60:61], s[10:11]
	v_mul_f64 v[98:99], v[44:45], s[10:11]
	v_mul_f64 v[100:101], v[70:71], s[12:13]
	v_mul_f64 v[92:93], v[92:93], s[18:19]
	v_mul_f64 v[102:103], v[60:61], s[8:9]
	v_mul_f64 v[44:45], v[44:45], s[14:15]
	v_mul_f64 v[104:105], v[70:71], s[16:17]
	v_fmac_f64_e32 v[94:95], s[18:19], v[74:75]
	v_fmac_f64_e32 v[96:97], s[8:9], v[78:79]
	;; [unrolled: 1-line block ×8, first 2 shown]
	v_add_f64 v[50:51], v[80:81], v[66:67]
	v_add_f64 v[54:55], v[84:85], v[94:95]
	;; [unrolled: 1-line block ×10, first 2 shown]
	v_add_f64 v[74:75], v[80:81], -v[66:67]
	v_add_f64 v[66:67], v[84:85], -v[94:95]
	;; [unrolled: 1-line block ×10, first 2 shown]
	s_barrier
	ds_write_b128 v109, v[16:19]
	ds_write_b128 v109, v[20:23] offset:1600
	ds_write_b128 v109, v[24:27] offset:3200
	;; [unrolled: 1-line block ×9, first 2 shown]
	ds_write_b128 v106, v[50:53]
	ds_write_b128 v106, v[54:57] offset:1600
	ds_write_b128 v106, v[58:61] offset:3200
	;; [unrolled: 1-line block ×9, first 2 shown]
	s_waitcnt lgkmcnt(0)
	s_barrier
	ds_read_b128 v[4:7], v108
	ds_read_b128 v[16:19], v108 offset:16000
	ds_read_b128 v[20:23], v108 offset:32000
	;; [unrolled: 1-line block ×19, first 2 shown]
	s_waitcnt lgkmcnt(14)
	v_mul_f64 v[80:81], v[234:235], v[18:19]
	v_fmac_f64_e32 v[80:81], v[232:233], v[16:17]
	v_mul_f64 v[16:17], v[234:235], v[16:17]
	v_fma_f64 v[16:17], v[232:233], v[18:19], -v[16:17]
	v_mul_f64 v[18:19], v[230:231], v[22:23]
	v_fmac_f64_e32 v[18:19], v[228:229], v[20:21]
	v_mul_f64 v[20:21], v[230:231], v[20:21]
	v_fma_f64 v[20:21], v[228:229], v[22:23], -v[20:21]
	;; [unrolled: 4-line block ×3, first 2 shown]
	v_mul_f64 v[82:83], v[242:243], v[30:31]
	v_mul_f64 v[26:27], v[242:243], v[28:29]
	v_fmac_f64_e32 v[82:83], v[240:241], v[28:29]
	v_fma_f64 v[28:29], v[240:241], v[30:31], -v[26:27]
	s_waitcnt lgkmcnt(13)
	v_mul_f64 v[30:31], v[246:247], v[34:35]
	v_mul_f64 v[26:27], v[246:247], v[32:33]
	v_fmac_f64_e32 v[30:31], v[244:245], v[32:33]
	v_fma_f64 v[32:33], v[244:245], v[34:35], -v[26:27]
	s_waitcnt lgkmcnt(12)
	;; [unrolled: 5-line block ×11, first 2 shown]
	v_mul_f64 v[74:75], v[122:123], v[78:79]
	v_mul_f64 v[26:27], v[122:123], v[76:77]
	v_fmac_f64_e32 v[74:75], v[120:121], v[76:77]
	v_fma_f64 v[76:77], v[120:121], v[78:79], -v[26:27]
	v_add_f64 v[26:27], v[4:5], -v[18:19]
	v_add_f64 v[38:39], v[6:7], -v[20:21]
	v_add_f64 v[22:23], v[80:81], -v[22:23]
	v_add_f64 v[24:25], v[16:17], -v[24:25]
	v_fma_f64 v[18:19], v[4:5], 2.0, -v[26:27]
	v_fma_f64 v[20:21], v[6:7], 2.0, -v[38:39]
	v_fma_f64 v[4:5], v[80:81], 2.0, -v[22:23]
	v_fma_f64 v[6:7], v[16:17], 2.0, -v[24:25]
	v_add_f64 v[4:5], v[18:19], -v[4:5]
	v_add_f64 v[6:7], v[20:21], -v[6:7]
	v_fma_f64 v[16:17], v[18:19], 2.0, -v[4:5]
	v_fma_f64 v[18:19], v[20:21], 2.0, -v[6:7]
	v_add_f64 v[20:21], v[26:27], v[24:25]
	v_add_f64 v[22:23], v[38:39], -v[22:23]
	v_fma_f64 v[24:25], v[26:27], 2.0, -v[20:21]
	v_fma_f64 v[26:27], v[38:39], 2.0, -v[22:23]
	v_add_f64 v[38:39], v[0:1], -v[30:31]
	v_add_f64 v[50:51], v[2:3], -v[32:33]
	v_add_f64 v[34:35], v[82:83], -v[34:35]
	v_add_f64 v[36:37], v[28:29], -v[36:37]
	v_fma_f64 v[30:31], v[0:1], 2.0, -v[38:39]
	v_fma_f64 v[32:33], v[2:3], 2.0, -v[50:51]
	v_fma_f64 v[0:1], v[82:83], 2.0, -v[34:35]
	v_fma_f64 v[2:3], v[28:29], 2.0, -v[36:37]
	v_add_f64 v[0:1], v[30:31], -v[0:1]
	v_add_f64 v[2:3], v[32:33], -v[2:3]
	v_fma_f64 v[28:29], v[30:31], 2.0, -v[0:1]
	v_fma_f64 v[30:31], v[32:33], 2.0, -v[2:3]
	v_add_f64 v[32:33], v[38:39], v[36:37]
	v_add_f64 v[34:35], v[50:51], -v[34:35]
	v_fma_f64 v[36:37], v[38:39], 2.0, -v[32:33]
	v_fma_f64 v[38:39], v[50:51], 2.0, -v[34:35]
	;; [unrolled: 16-line block ×5, first 2 shown]
	ds_write_b128 v108, v[16:19]
	ds_write_b128 v108, v[24:27] offset:16000
	ds_write_b128 v108, v[4:7] offset:32000
	;; [unrolled: 1-line block ×19, first 2 shown]
	s_waitcnt lgkmcnt(0)
	s_barrier
	ds_read_b128 v[0:3], v108
	v_accvgpr_read_b32 v9, a5
	v_accvgpr_read_b32 v8, a4
	;; [unrolled: 1-line block ×4, first 2 shown]
	s_waitcnt lgkmcnt(0)
	v_mul_f64 v[4:5], v[8:9], v[2:3]
	v_fmac_f64_e32 v[4:5], v[6:7], v[0:1]
	s_mov_b32 s2, 0xd2f1a9fc
	v_mul_f64 v[0:1], v[8:9], v[0:1]
	s_mov_b32 s3, 0x3f30624d
	v_fma_f64 v[0:1], v[6:7], v[2:3], -v[0:1]
	v_mul_f64 v[6:7], v[0:1], s[2:3]
	v_mad_u64_u32 v[0:1], s[4:5], s0, v148, 0
	v_mov_b32_e32 v2, v1
	v_mad_u64_u32 v[2:3], s[4:5], s1, v148, v[2:3]
	v_mov_b32_e32 v1, v2
	v_accvgpr_read_b32 v3, a1
	v_accvgpr_read_b32 v2, a0
	v_lshl_add_u64 v[2:3], v[2:3], 4, v[170:171]
	v_lshl_add_u64 v[8:9], v[0:1], 4, v[2:3]
	ds_read_b128 v[0:3], v108 offset:6400
	v_accvgpr_read_b32 v13, a9
	v_mul_f64 v[4:5], v[4:5], s[2:3]
	v_accvgpr_read_b32 v12, a8
	global_store_dwordx4 v[8:9], v[4:7], off
	v_accvgpr_read_b32 v11, a7
	v_accvgpr_read_b32 v10, a6
	s_waitcnt lgkmcnt(0)
	v_mul_f64 v[4:5], v[12:13], v[2:3]
	v_fmac_f64_e32 v[4:5], v[10:11], v[0:1]
	v_mul_f64 v[0:1], v[12:13], v[0:1]
	v_fma_f64 v[0:1], v[10:11], v[2:3], -v[0:1]
	v_mul_f64 v[6:7], v[0:1], s[2:3]
	ds_read_b128 v[0:3], v108 offset:12800
	v_mad_u64_u32 v[8:9], s[4:5], s0, v137, v[8:9]
	s_mul_i32 s4, s1, 0x1900
	v_accvgpr_read_b32 v10, a10
	v_mul_f64 v[4:5], v[4:5], s[2:3]
	v_add_u32_e32 v9, s4, v9
	v_accvgpr_read_b32 v12, a12
	v_accvgpr_read_b32 v13, a13
	global_store_dwordx4 v[8:9], v[4:7], off
	v_accvgpr_read_b32 v11, a11
	v_mad_u64_u32 v[8:9], s[6:7], s0, v137, v[8:9]
	s_waitcnt lgkmcnt(0)
	v_mul_f64 v[4:5], v[12:13], v[2:3]
	v_fmac_f64_e32 v[4:5], v[10:11], v[0:1]
	v_mul_f64 v[0:1], v[12:13], v[0:1]
	v_fma_f64 v[0:1], v[10:11], v[2:3], -v[0:1]
	v_mul_f64 v[6:7], v[0:1], s[2:3]
	ds_read_b128 v[0:3], v108 offset:19200
	v_accvgpr_read_b32 v10, a18
	v_mul_f64 v[4:5], v[4:5], s[2:3]
	v_add_u32_e32 v9, s4, v9
	v_accvgpr_read_b32 v12, a20
	v_accvgpr_read_b32 v13, a21
	global_store_dwordx4 v[8:9], v[4:7], off
	v_accvgpr_read_b32 v11, a19
	v_mad_u64_u32 v[8:9], s[6:7], s0, v137, v[8:9]
	s_waitcnt lgkmcnt(0)
	v_mul_f64 v[4:5], v[12:13], v[2:3]
	v_fmac_f64_e32 v[4:5], v[10:11], v[0:1]
	v_mul_f64 v[0:1], v[12:13], v[0:1]
	v_fma_f64 v[0:1], v[10:11], v[2:3], -v[0:1]
	v_mul_f64 v[6:7], v[0:1], s[2:3]
	ds_read_b128 v[0:3], v108 offset:25600
	;; [unrolled: 15-line block ×8, first 2 shown]
	v_accvgpr_read_b32 v10, a46
	v_mul_f64 v[4:5], v[4:5], s[2:3]
	v_add_u32_e32 v9, s4, v9
	v_accvgpr_read_b32 v12, a48
	v_accvgpr_read_b32 v13, a49
	global_store_dwordx4 v[8:9], v[4:7], off
	v_accvgpr_read_b32 v11, a47
	s_mul_i32 s1, s1, 0xffff2b80
	s_waitcnt lgkmcnt(0)
	v_mul_f64 v[4:5], v[12:13], v[2:3]
	v_fmac_f64_e32 v[4:5], v[10:11], v[0:1]
	v_mul_f64 v[0:1], v[12:13], v[0:1]
	v_fma_f64 v[0:1], v[10:11], v[2:3], -v[0:1]
	v_mul_f64 v[6:7], v[0:1], s[2:3]
	ds_read_b128 v[0:3], v108 offset:9600
	v_mad_u64_u32 v[8:9], s[6:7], s0, v169, v[8:9]
	s_sub_i32 s1, s1, s0
	v_accvgpr_read_b32 v10, a50
	v_mul_f64 v[4:5], v[4:5], s[2:3]
	v_add_u32_e32 v9, s1, v9
	v_accvgpr_read_b32 v12, a52
	v_accvgpr_read_b32 v13, a53
	global_store_dwordx4 v[8:9], v[4:7], off
	v_accvgpr_read_b32 v11, a51
	v_mad_u64_u32 v[8:9], s[6:7], s0, v137, v[8:9]
	s_waitcnt lgkmcnt(0)
	v_mul_f64 v[4:5], v[12:13], v[2:3]
	v_fmac_f64_e32 v[4:5], v[10:11], v[0:1]
	v_mul_f64 v[0:1], v[12:13], v[0:1]
	v_fma_f64 v[0:1], v[10:11], v[2:3], -v[0:1]
	v_mul_f64 v[6:7], v[0:1], s[2:3]
	ds_read_b128 v[0:3], v108 offset:16000
	v_accvgpr_read_b32 v10, a54
	v_mul_f64 v[4:5], v[4:5], s[2:3]
	v_add_u32_e32 v9, s4, v9
	v_accvgpr_read_b32 v12, a56
	v_accvgpr_read_b32 v13, a57
	global_store_dwordx4 v[8:9], v[4:7], off
	v_accvgpr_read_b32 v11, a55
	v_mad_u64_u32 v[8:9], s[6:7], s0, v137, v[8:9]
	s_waitcnt lgkmcnt(0)
	v_mul_f64 v[4:5], v[12:13], v[2:3]
	v_fmac_f64_e32 v[4:5], v[10:11], v[0:1]
	v_mul_f64 v[0:1], v[12:13], v[0:1]
	v_fma_f64 v[0:1], v[10:11], v[2:3], -v[0:1]
	v_mul_f64 v[6:7], v[0:1], s[2:3]
	ds_read_b128 v[0:3], v108 offset:22400
	;; [unrolled: 15-line block ×6, first 2 shown]
	v_accvgpr_read_b32 v10, a74
	v_mul_f64 v[4:5], v[4:5], s[2:3]
	v_add_u32_e32 v9, s4, v9
	v_accvgpr_read_b32 v12, a76
	v_accvgpr_read_b32 v13, a77
	global_store_dwordx4 v[8:9], v[4:7], off
	v_accvgpr_read_b32 v11, a75
	s_waitcnt lgkmcnt(0)
	v_mul_f64 v[4:5], v[12:13], v[2:3]
	v_fmac_f64_e32 v[4:5], v[10:11], v[0:1]
	v_mul_f64 v[0:1], v[12:13], v[0:1]
	v_fma_f64 v[0:1], v[10:11], v[2:3], -v[0:1]
	v_mul_f64 v[6:7], v[0:1], s[2:3]
	ds_read_b128 v[0:3], v108 offset:54400
	v_mad_u64_u32 v[10:11], s[6:7], s0, v137, v[8:9]
	v_accvgpr_read_b32 v12, a78
	v_mul_f64 v[4:5], v[4:5], s[2:3]
	v_add_u32_e32 v11, s4, v11
	v_accvgpr_read_b32 v14, a80
	v_accvgpr_read_b32 v15, a81
	global_store_dwordx4 v[10:11], v[4:7], off
	v_accvgpr_read_b32 v13, a79
	s_waitcnt lgkmcnt(0)
	v_mul_f64 v[4:5], v[14:15], v[2:3]
	v_fmac_f64_e32 v[4:5], v[12:13], v[0:1]
	v_mul_f64 v[0:1], v[14:15], v[0:1]
	v_fma_f64 v[0:1], v[12:13], v[2:3], -v[0:1]
	v_mul_f64 v[8:9], v[0:1], s[2:3]
	ds_read_b128 v[0:3], v108 offset:60800
	v_mul_f64 v[6:7], v[4:5], s[2:3]
	v_mad_u64_u32 v[4:5], s[6:7], s0, v137, v[10:11]
	v_add_u32_e32 v5, s4, v5
	global_store_dwordx4 v[4:5], v[6:9], off
	s_nop 1
	v_accvgpr_read_b32 v8, a14
	v_accvgpr_read_b32 v10, a16
	;; [unrolled: 1-line block ×4, first 2 shown]
	s_waitcnt lgkmcnt(0)
	v_mul_f64 v[6:7], v[10:11], v[2:3]
	v_fmac_f64_e32 v[6:7], v[8:9], v[0:1]
	v_mul_f64 v[0:1], v[10:11], v[0:1]
	v_fma_f64 v[0:1], v[8:9], v[2:3], -v[0:1]
	v_mul_f64 v[8:9], v[0:1], s[2:3]
	v_mad_u64_u32 v[0:1], s[0:1], s0, v137, v[4:5]
	v_mul_f64 v[6:7], v[6:7], s[2:3]
	v_add_u32_e32 v1, s4, v1
	global_store_dwordx4 v[0:1], v[6:9], off
.LBB0_2:
	s_endpgm
	.section	.rodata,"a",@progbits
	.p2align	6, 0x0
	.amdhsa_kernel bluestein_single_fwd_len4000_dim1_dp_op_CI_CI
		.amdhsa_group_segment_fixed_size 64000
		.amdhsa_private_segment_fixed_size 0
		.amdhsa_kernarg_size 104
		.amdhsa_user_sgpr_count 2
		.amdhsa_user_sgpr_dispatch_ptr 0
		.amdhsa_user_sgpr_queue_ptr 0
		.amdhsa_user_sgpr_kernarg_segment_ptr 1
		.amdhsa_user_sgpr_dispatch_id 0
		.amdhsa_user_sgpr_kernarg_preload_length 0
		.amdhsa_user_sgpr_kernarg_preload_offset 0
		.amdhsa_user_sgpr_private_segment_size 0
		.amdhsa_uses_dynamic_stack 0
		.amdhsa_enable_private_segment 0
		.amdhsa_system_sgpr_workgroup_id_x 1
		.amdhsa_system_sgpr_workgroup_id_y 0
		.amdhsa_system_sgpr_workgroup_id_z 0
		.amdhsa_system_sgpr_workgroup_info 0
		.amdhsa_system_vgpr_workitem_id 0
		.amdhsa_next_free_vgpr 422
		.amdhsa_next_free_sgpr 28
		.amdhsa_accum_offset 256
		.amdhsa_reserve_vcc 1
		.amdhsa_float_round_mode_32 0
		.amdhsa_float_round_mode_16_64 0
		.amdhsa_float_denorm_mode_32 3
		.amdhsa_float_denorm_mode_16_64 3
		.amdhsa_dx10_clamp 1
		.amdhsa_ieee_mode 1
		.amdhsa_fp16_overflow 0
		.amdhsa_tg_split 0
		.amdhsa_exception_fp_ieee_invalid_op 0
		.amdhsa_exception_fp_denorm_src 0
		.amdhsa_exception_fp_ieee_div_zero 0
		.amdhsa_exception_fp_ieee_overflow 0
		.amdhsa_exception_fp_ieee_underflow 0
		.amdhsa_exception_fp_ieee_inexact 0
		.amdhsa_exception_int_div_zero 0
	.end_amdhsa_kernel
	.text
.Lfunc_end0:
	.size	bluestein_single_fwd_len4000_dim1_dp_op_CI_CI, .Lfunc_end0-bluestein_single_fwd_len4000_dim1_dp_op_CI_CI
                                        ; -- End function
	.section	.AMDGPU.csdata,"",@progbits
; Kernel info:
; codeLenInByte = 27432
; NumSgprs: 34
; NumVgprs: 256
; NumAgprs: 166
; TotalNumVgprs: 422
; ScratchSize: 0
; MemoryBound: 0
; FloatMode: 240
; IeeeMode: 1
; LDSByteSize: 64000 bytes/workgroup (compile time only)
; SGPRBlocks: 4
; VGPRBlocks: 52
; NumSGPRsForWavesPerEU: 34
; NumVGPRsForWavesPerEU: 422
; AccumOffset: 256
; Occupancy: 1
; WaveLimiterHint : 1
; COMPUTE_PGM_RSRC2:SCRATCH_EN: 0
; COMPUTE_PGM_RSRC2:USER_SGPR: 2
; COMPUTE_PGM_RSRC2:TRAP_HANDLER: 0
; COMPUTE_PGM_RSRC2:TGID_X_EN: 1
; COMPUTE_PGM_RSRC2:TGID_Y_EN: 0
; COMPUTE_PGM_RSRC2:TGID_Z_EN: 0
; COMPUTE_PGM_RSRC2:TIDIG_COMP_CNT: 0
; COMPUTE_PGM_RSRC3_GFX90A:ACCUM_OFFSET: 63
; COMPUTE_PGM_RSRC3_GFX90A:TG_SPLIT: 0
	.text
	.p2alignl 6, 3212836864
	.fill 256, 4, 3212836864
	.type	__hip_cuid_6ef073b2de93925a,@object ; @__hip_cuid_6ef073b2de93925a
	.section	.bss,"aw",@nobits
	.globl	__hip_cuid_6ef073b2de93925a
__hip_cuid_6ef073b2de93925a:
	.byte	0                               ; 0x0
	.size	__hip_cuid_6ef073b2de93925a, 1

	.ident	"AMD clang version 19.0.0git (https://github.com/RadeonOpenCompute/llvm-project roc-6.4.0 25133 c7fe45cf4b819c5991fe208aaa96edf142730f1d)"
	.section	".note.GNU-stack","",@progbits
	.addrsig
	.addrsig_sym __hip_cuid_6ef073b2de93925a
	.amdgpu_metadata
---
amdhsa.kernels:
  - .agpr_count:     166
    .args:
      - .actual_access:  read_only
        .address_space:  global
        .offset:         0
        .size:           8
        .value_kind:     global_buffer
      - .actual_access:  read_only
        .address_space:  global
        .offset:         8
        .size:           8
        .value_kind:     global_buffer
      - .actual_access:  read_only
        .address_space:  global
        .offset:         16
        .size:           8
        .value_kind:     global_buffer
      - .actual_access:  read_only
        .address_space:  global
        .offset:         24
        .size:           8
        .value_kind:     global_buffer
      - .actual_access:  read_only
        .address_space:  global
        .offset:         32
        .size:           8
        .value_kind:     global_buffer
      - .offset:         40
        .size:           8
        .value_kind:     by_value
      - .address_space:  global
        .offset:         48
        .size:           8
        .value_kind:     global_buffer
      - .address_space:  global
        .offset:         56
        .size:           8
        .value_kind:     global_buffer
      - .address_space:  global
        .offset:         64
        .size:           8
        .value_kind:     global_buffer
      - .address_space:  global
        .offset:         72
        .size:           8
        .value_kind:     global_buffer
      - .offset:         80
        .size:           4
        .value_kind:     by_value
      - .address_space:  global
        .offset:         88
        .size:           8
        .value_kind:     global_buffer
      - .address_space:  global
        .offset:         96
        .size:           8
        .value_kind:     global_buffer
    .group_segment_fixed_size: 64000
    .kernarg_segment_align: 8
    .kernarg_segment_size: 104
    .language:       OpenCL C
    .language_version:
      - 2
      - 0
    .max_flat_workgroup_size: 200
    .name:           bluestein_single_fwd_len4000_dim1_dp_op_CI_CI
    .private_segment_fixed_size: 0
    .sgpr_count:     34
    .sgpr_spill_count: 0
    .symbol:         bluestein_single_fwd_len4000_dim1_dp_op_CI_CI.kd
    .uniform_work_group_size: 1
    .uses_dynamic_stack: false
    .vgpr_count:     422
    .vgpr_spill_count: 0
    .wavefront_size: 64
amdhsa.target:   amdgcn-amd-amdhsa--gfx950
amdhsa.version:
  - 1
  - 2
...

	.end_amdgpu_metadata
